;; amdgpu-corpus repo=ROCm/rocFFT kind=compiled arch=gfx906 opt=O3
	.text
	.amdgcn_target "amdgcn-amd-amdhsa--gfx906"
	.amdhsa_code_object_version 6
	.protected	fft_rtc_fwd_len2430_factors_10_3_3_3_3_3_wgs_81_tpt_81_halfLds_sp_ip_CI_unitstride_sbrr_C2R_dirReg ; -- Begin function fft_rtc_fwd_len2430_factors_10_3_3_3_3_3_wgs_81_tpt_81_halfLds_sp_ip_CI_unitstride_sbrr_C2R_dirReg
	.globl	fft_rtc_fwd_len2430_factors_10_3_3_3_3_3_wgs_81_tpt_81_halfLds_sp_ip_CI_unitstride_sbrr_C2R_dirReg
	.p2align	8
	.type	fft_rtc_fwd_len2430_factors_10_3_3_3_3_3_wgs_81_tpt_81_halfLds_sp_ip_CI_unitstride_sbrr_C2R_dirReg,@function
fft_rtc_fwd_len2430_factors_10_3_3_3_3_3_wgs_81_tpt_81_halfLds_sp_ip_CI_unitstride_sbrr_C2R_dirReg: ; @fft_rtc_fwd_len2430_factors_10_3_3_3_3_3_wgs_81_tpt_81_halfLds_sp_ip_CI_unitstride_sbrr_C2R_dirReg
; %bb.0:
	s_load_dwordx2 s[2:3], s[4:5], 0x50
	s_load_dwordx4 s[8:11], s[4:5], 0x0
	s_load_dwordx2 s[12:13], s[4:5], 0x18
	v_mul_u32_u24_e32 v1, 0x32a, v0
	v_add_u32_sdwa v5, s6, v1 dst_sel:DWORD dst_unused:UNUSED_PAD src0_sel:DWORD src1_sel:WORD_1
	v_mov_b32_e32 v3, 0
	s_waitcnt lgkmcnt(0)
	v_cmp_lt_u64_e64 s[0:1], s[10:11], 2
	v_mov_b32_e32 v1, 0
	v_mov_b32_e32 v6, v3
	s_and_b64 vcc, exec, s[0:1]
	v_mov_b32_e32 v2, 0
	s_cbranch_vccnz .LBB0_8
; %bb.1:
	s_load_dwordx2 s[0:1], s[4:5], 0x10
	s_add_u32 s6, s12, 8
	s_addc_u32 s7, s13, 0
	v_mov_b32_e32 v1, 0
	v_mov_b32_e32 v2, 0
	s_waitcnt lgkmcnt(0)
	s_add_u32 s14, s0, 8
	s_addc_u32 s15, s1, 0
	s_mov_b64 s[16:17], 1
.LBB0_2:                                ; =>This Inner Loop Header: Depth=1
	s_load_dwordx2 s[18:19], s[14:15], 0x0
                                        ; implicit-def: $vgpr7_vgpr8
	s_waitcnt lgkmcnt(0)
	v_or_b32_e32 v4, s19, v6
	v_cmp_ne_u64_e32 vcc, 0, v[3:4]
	s_and_saveexec_b64 s[0:1], vcc
	s_xor_b64 s[20:21], exec, s[0:1]
	s_cbranch_execz .LBB0_4
; %bb.3:                                ;   in Loop: Header=BB0_2 Depth=1
	v_cvt_f32_u32_e32 v4, s18
	v_cvt_f32_u32_e32 v7, s19
	s_sub_u32 s0, 0, s18
	s_subb_u32 s1, 0, s19
	v_mac_f32_e32 v4, 0x4f800000, v7
	v_rcp_f32_e32 v4, v4
	v_mul_f32_e32 v4, 0x5f7ffffc, v4
	v_mul_f32_e32 v7, 0x2f800000, v4
	v_trunc_f32_e32 v7, v7
	v_mac_f32_e32 v4, 0xcf800000, v7
	v_cvt_u32_f32_e32 v7, v7
	v_cvt_u32_f32_e32 v4, v4
	v_mul_lo_u32 v8, s0, v7
	v_mul_hi_u32 v9, s0, v4
	v_mul_lo_u32 v11, s1, v4
	v_mul_lo_u32 v10, s0, v4
	v_add_u32_e32 v8, v9, v8
	v_add_u32_e32 v8, v8, v11
	v_mul_hi_u32 v9, v4, v10
	v_mul_lo_u32 v11, v4, v8
	v_mul_hi_u32 v13, v4, v8
	v_mul_hi_u32 v12, v7, v10
	v_mul_lo_u32 v10, v7, v10
	v_mul_hi_u32 v14, v7, v8
	v_add_co_u32_e32 v9, vcc, v9, v11
	v_addc_co_u32_e32 v11, vcc, 0, v13, vcc
	v_mul_lo_u32 v8, v7, v8
	v_add_co_u32_e32 v9, vcc, v9, v10
	v_addc_co_u32_e32 v9, vcc, v11, v12, vcc
	v_addc_co_u32_e32 v10, vcc, 0, v14, vcc
	v_add_co_u32_e32 v8, vcc, v9, v8
	v_addc_co_u32_e32 v9, vcc, 0, v10, vcc
	v_add_co_u32_e32 v4, vcc, v4, v8
	v_addc_co_u32_e32 v7, vcc, v7, v9, vcc
	v_mul_lo_u32 v8, s0, v7
	v_mul_hi_u32 v9, s0, v4
	v_mul_lo_u32 v10, s1, v4
	v_mul_lo_u32 v11, s0, v4
	v_add_u32_e32 v8, v9, v8
	v_add_u32_e32 v8, v8, v10
	v_mul_lo_u32 v12, v4, v8
	v_mul_hi_u32 v13, v4, v11
	v_mul_hi_u32 v14, v4, v8
	;; [unrolled: 1-line block ×3, first 2 shown]
	v_mul_lo_u32 v11, v7, v11
	v_mul_hi_u32 v9, v7, v8
	v_add_co_u32_e32 v12, vcc, v13, v12
	v_addc_co_u32_e32 v13, vcc, 0, v14, vcc
	v_mul_lo_u32 v8, v7, v8
	v_add_co_u32_e32 v11, vcc, v12, v11
	v_addc_co_u32_e32 v10, vcc, v13, v10, vcc
	v_addc_co_u32_e32 v9, vcc, 0, v9, vcc
	v_add_co_u32_e32 v8, vcc, v10, v8
	v_addc_co_u32_e32 v9, vcc, 0, v9, vcc
	v_add_co_u32_e32 v4, vcc, v4, v8
	v_addc_co_u32_e32 v9, vcc, v7, v9, vcc
	v_mad_u64_u32 v[7:8], s[0:1], v5, v9, 0
	v_mul_hi_u32 v10, v5, v4
	v_add_co_u32_e32 v11, vcc, v10, v7
	v_addc_co_u32_e32 v12, vcc, 0, v8, vcc
	v_mad_u64_u32 v[7:8], s[0:1], v6, v4, 0
	v_mad_u64_u32 v[9:10], s[0:1], v6, v9, 0
	v_add_co_u32_e32 v4, vcc, v11, v7
	v_addc_co_u32_e32 v4, vcc, v12, v8, vcc
	v_addc_co_u32_e32 v7, vcc, 0, v10, vcc
	v_add_co_u32_e32 v4, vcc, v4, v9
	v_addc_co_u32_e32 v9, vcc, 0, v7, vcc
	v_mul_lo_u32 v10, s19, v4
	v_mul_lo_u32 v11, s18, v9
	v_mad_u64_u32 v[7:8], s[0:1], s18, v4, 0
	v_add3_u32 v8, v8, v11, v10
	v_sub_u32_e32 v10, v6, v8
	v_mov_b32_e32 v11, s19
	v_sub_co_u32_e32 v7, vcc, v5, v7
	v_subb_co_u32_e64 v10, s[0:1], v10, v11, vcc
	v_subrev_co_u32_e64 v11, s[0:1], s18, v7
	v_subbrev_co_u32_e64 v10, s[0:1], 0, v10, s[0:1]
	v_cmp_le_u32_e64 s[0:1], s19, v10
	v_cndmask_b32_e64 v12, 0, -1, s[0:1]
	v_cmp_le_u32_e64 s[0:1], s18, v11
	v_cndmask_b32_e64 v11, 0, -1, s[0:1]
	v_cmp_eq_u32_e64 s[0:1], s19, v10
	v_cndmask_b32_e64 v10, v12, v11, s[0:1]
	v_add_co_u32_e64 v11, s[0:1], 2, v4
	v_addc_co_u32_e64 v12, s[0:1], 0, v9, s[0:1]
	v_add_co_u32_e64 v13, s[0:1], 1, v4
	v_addc_co_u32_e64 v14, s[0:1], 0, v9, s[0:1]
	v_subb_co_u32_e32 v8, vcc, v6, v8, vcc
	v_cmp_ne_u32_e64 s[0:1], 0, v10
	v_cmp_le_u32_e32 vcc, s19, v8
	v_cndmask_b32_e64 v10, v14, v12, s[0:1]
	v_cndmask_b32_e64 v12, 0, -1, vcc
	v_cmp_le_u32_e32 vcc, s18, v7
	v_cndmask_b32_e64 v7, 0, -1, vcc
	v_cmp_eq_u32_e32 vcc, s19, v8
	v_cndmask_b32_e32 v7, v12, v7, vcc
	v_cmp_ne_u32_e32 vcc, 0, v7
	v_cndmask_b32_e64 v7, v13, v11, s[0:1]
	v_cndmask_b32_e32 v8, v9, v10, vcc
	v_cndmask_b32_e32 v7, v4, v7, vcc
.LBB0_4:                                ;   in Loop: Header=BB0_2 Depth=1
	s_andn2_saveexec_b64 s[0:1], s[20:21]
	s_cbranch_execz .LBB0_6
; %bb.5:                                ;   in Loop: Header=BB0_2 Depth=1
	v_cvt_f32_u32_e32 v4, s18
	s_sub_i32 s20, 0, s18
	v_rcp_iflag_f32_e32 v4, v4
	v_mul_f32_e32 v4, 0x4f7ffffe, v4
	v_cvt_u32_f32_e32 v4, v4
	v_mul_lo_u32 v7, s20, v4
	v_mul_hi_u32 v7, v4, v7
	v_add_u32_e32 v4, v4, v7
	v_mul_hi_u32 v4, v5, v4
	v_mul_lo_u32 v7, v4, s18
	v_add_u32_e32 v8, 1, v4
	v_sub_u32_e32 v7, v5, v7
	v_subrev_u32_e32 v9, s18, v7
	v_cmp_le_u32_e32 vcc, s18, v7
	v_cndmask_b32_e32 v7, v7, v9, vcc
	v_cndmask_b32_e32 v4, v4, v8, vcc
	v_add_u32_e32 v8, 1, v4
	v_cmp_le_u32_e32 vcc, s18, v7
	v_cndmask_b32_e32 v7, v4, v8, vcc
	v_mov_b32_e32 v8, v3
.LBB0_6:                                ;   in Loop: Header=BB0_2 Depth=1
	s_or_b64 exec, exec, s[0:1]
	v_mul_lo_u32 v4, v8, s18
	v_mul_lo_u32 v11, v7, s19
	v_mad_u64_u32 v[9:10], s[0:1], v7, s18, 0
	s_load_dwordx2 s[0:1], s[6:7], 0x0
	s_add_u32 s16, s16, 1
	v_add3_u32 v4, v10, v11, v4
	v_sub_co_u32_e32 v5, vcc, v5, v9
	v_subb_co_u32_e32 v4, vcc, v6, v4, vcc
	s_waitcnt lgkmcnt(0)
	v_mul_lo_u32 v4, s0, v4
	v_mul_lo_u32 v6, s1, v5
	v_mad_u64_u32 v[1:2], s[0:1], s0, v5, v[1:2]
	s_addc_u32 s17, s17, 0
	s_add_u32 s6, s6, 8
	v_add3_u32 v2, v6, v2, v4
	v_mov_b32_e32 v4, s10
	v_mov_b32_e32 v5, s11
	s_addc_u32 s7, s7, 0
	v_cmp_ge_u64_e32 vcc, s[16:17], v[4:5]
	s_add_u32 s14, s14, 8
	s_addc_u32 s15, s15, 0
	s_cbranch_vccnz .LBB0_9
; %bb.7:                                ;   in Loop: Header=BB0_2 Depth=1
	v_mov_b32_e32 v5, v7
	v_mov_b32_e32 v6, v8
	s_branch .LBB0_2
.LBB0_8:
	v_mov_b32_e32 v8, v6
	v_mov_b32_e32 v7, v5
.LBB0_9:
	s_lshl_b64 s[0:1], s[10:11], 3
	s_add_u32 s0, s12, s0
	s_addc_u32 s1, s13, s1
	s_load_dwordx2 s[6:7], s[0:1], 0x0
	s_load_dwordx2 s[10:11], s[4:5], 0x20
	s_waitcnt lgkmcnt(0)
	v_mad_u64_u32 v[1:2], s[0:1], s6, v7, v[1:2]
	v_mul_lo_u32 v3, s6, v8
	v_mul_lo_u32 v4, s7, v7
	s_mov_b32 s0, 0x3291620
	v_mul_hi_u32 v5, v0, s0
	v_cmp_gt_u64_e64 s[0:1], s[10:11], v[7:8]
	v_add3_u32 v2, v4, v2, v3
	v_lshlrev_b64 v[62:63], 3, v[1:2]
	v_mul_u32_u24_e32 v3, 0x51, v5
	v_sub_u32_e32 v60, v0, v3
	s_and_saveexec_b64 s[4:5], s[0:1]
	s_cbranch_execz .LBB0_13
; %bb.10:
	v_mov_b32_e32 v61, 0
	v_mov_b32_e32 v0, s3
	v_add_co_u32_e32 v1, vcc, s2, v62
	v_lshlrev_b64 v[2:3], 3, v[60:61]
	v_addc_co_u32_e32 v0, vcc, v0, v63, vcc
	v_add_co_u32_e32 v2, vcc, v1, v2
	v_addc_co_u32_e32 v3, vcc, v0, v3, vcc
	s_movk_i32 s6, 0x1000
	v_add_co_u32_e32 v4, vcc, s6, v2
	v_addc_co_u32_e32 v5, vcc, 0, v3, vcc
	s_movk_i32 s6, 0x2000
	;; [unrolled: 3-line block ×3, first 2 shown]
	global_load_dwordx2 v[6:7], v[2:3], off offset:2592
	global_load_dwordx2 v[8:9], v[2:3], off offset:3240
	;; [unrolled: 1-line block ×12, first 2 shown]
	v_add_co_u32_e32 v4, vcc, s6, v2
	v_addc_co_u32_e32 v5, vcc, 0, v3, vcc
	global_load_dwordx2 v[32:33], v[22:23], off offset:2176
	global_load_dwordx2 v[34:35], v[22:23], off offset:2824
	;; [unrolled: 1-line block ×4, first 2 shown]
	global_load_dwordx2 v[40:41], v[2:3], off
	global_load_dwordx2 v[42:43], v[2:3], off offset:648
	global_load_dwordx2 v[44:45], v[2:3], off offset:1296
	;; [unrolled: 1-line block ×3, first 2 shown]
	v_add_co_u32_e32 v2, vcc, 0x4000, v2
	v_addc_co_u32_e32 v3, vcc, 0, v3, vcc
	global_load_dwordx2 v[22:23], v[4:5], off offset:672
	global_load_dwordx2 v[48:49], v[4:5], off offset:1320
	;; [unrolled: 1-line block ×10, first 2 shown]
	v_lshl_add_u32 v2, v60, 3, 0
	v_add_u32_e32 v3, 0x800, v2
	s_movk_i32 s6, 0x50
	v_add_u32_e32 v4, 0xc00, v2
	v_add_u32_e32 v5, 0x1000, v2
	;; [unrolled: 1-line block ×10, first 2 shown]
	v_cmp_eq_u32_e32 vcc, s6, v60
	s_waitcnt vmcnt(28)
	ds_write2_b64 v3, v[6:7], v[8:9] offset0:68 offset1:149
	s_waitcnt vmcnt(12)
	ds_write2_b64 v2, v[40:41], v[42:43] offset1:81
	s_waitcnt vmcnt(10)
	ds_write2_b64 v2, v[44:45], v[46:47] offset0:162 offset1:243
	ds_write2_b64 v4, v[10:11], v[12:13] offset0:102 offset1:183
	ds_write2_b64 v5, v[14:15], v[16:17] offset0:136 offset1:217
	ds_write2_b64 v70, v[18:19], v[20:21] offset0:42 offset1:123
	ds_write2_b64 v71, v[24:25], v[26:27] offset0:76 offset1:157
	ds_write2_b64 v72, v[28:29], v[30:31] offset0:110 offset1:191
	ds_write2_b64 v73, v[32:33], v[34:35] offset0:16 offset1:97
	ds_write2_b64 v74, v[36:37], v[38:39] offset0:50 offset1:131
	s_waitcnt vmcnt(8)
	ds_write2_b64 v75, v[22:23], v[48:49] offset0:84 offset1:165
	s_waitcnt vmcnt(6)
	ds_write2_b64 v76, v[50:51], v[52:53] offset0:118 offset1:199
	;; [unrolled: 2-line block ×3, first 2 shown]
	v_add_u32_e32 v3, 0x4000, v2
	v_add_u32_e32 v2, 0x4400, v2
	s_waitcnt vmcnt(2)
	ds_write2_b64 v3, v[58:59], v[64:65] offset0:58 offset1:139
	s_waitcnt vmcnt(0)
	ds_write2_b64 v2, v[66:67], v[68:69] offset0:92 offset1:173
	s_and_saveexec_b64 s[6:7], vcc
	s_cbranch_execz .LBB0_12
; %bb.11:
	v_add_co_u32_e32 v1, vcc, 0x4000, v1
	v_addc_co_u32_e32 v2, vcc, 0, v0, vcc
	global_load_dwordx2 v[0:1], v[1:2], off offset:3056
	v_mov_b32_e32 v60, 0x50
	s_waitcnt vmcnt(0)
	ds_write_b64 v61, v[0:1] offset:19440
.LBB0_12:
	s_or_b64 exec, exec, s[6:7]
.LBB0_13:
	s_or_b64 exec, exec, s[4:5]
	v_lshlrev_b32_e32 v0, 3, v60
	v_add_u32_e32 v64, 0, v0
	s_waitcnt lgkmcnt(0)
	s_barrier
	v_sub_u32_e32 v4, 0, v0
	ds_read_b32 v5, v64
	ds_read_b32 v6, v4 offset:19440
	s_add_u32 s6, s8, 0x4ba0
	s_addc_u32 s7, s9, 0
	v_cmp_ne_u32_e32 vcc, 0, v60
                                        ; implicit-def: $vgpr2_vgpr3
	s_waitcnt lgkmcnt(0)
	v_add_f32_e32 v0, v6, v5
	v_sub_f32_e32 v1, v5, v6
	s_and_saveexec_b64 s[4:5], vcc
	s_xor_b64 s[4:5], exec, s[4:5]
	s_cbranch_execz .LBB0_15
; %bb.14:
	v_mov_b32_e32 v61, 0
	v_lshlrev_b64 v[0:1], 3, v[60:61]
	v_mov_b32_e32 v2, s7
	v_add_co_u32_e32 v0, vcc, s6, v0
	v_addc_co_u32_e32 v1, vcc, v2, v1, vcc
	global_load_dwordx2 v[2:3], v[0:1], off
	ds_read_b32 v0, v4 offset:19444
	ds_read_b32 v1, v64 offset:4
	v_add_f32_e32 v7, v6, v5
	v_sub_f32_e32 v8, v5, v6
	s_waitcnt lgkmcnt(0)
	v_add_f32_e32 v9, v0, v1
	v_sub_f32_e32 v0, v1, v0
	s_waitcnt vmcnt(0)
	v_fma_f32 v10, v8, v3, v7
	v_fma_f32 v1, v9, v3, v0
	v_fma_f32 v5, -v8, v3, v7
	v_fma_f32 v6, v9, v3, -v0
	v_fma_f32 v0, -v2, v9, v10
	v_fmac_f32_e32 v1, v8, v2
	v_fmac_f32_e32 v5, v2, v9
	;; [unrolled: 1-line block ×3, first 2 shown]
	v_mov_b32_e32 v2, v60
	ds_write_b64 v4, v[5:6] offset:19440
	v_mov_b32_e32 v3, v61
.LBB0_15:
	s_andn2_saveexec_b64 s[4:5], s[4:5]
	s_cbranch_execz .LBB0_17
; %bb.16:
	v_mov_b32_e32 v7, 0
	ds_read_b64 v[2:3], v7 offset:9720
	s_waitcnt lgkmcnt(0)
	v_add_f32_e32 v5, v2, v2
	v_mul_f32_e32 v6, -2.0, v3
	v_mov_b32_e32 v2, 0
	v_mov_b32_e32 v3, 0
	ds_write_b64 v7, v[5:6] offset:9720
.LBB0_17:
	s_or_b64 exec, exec, s[4:5]
	v_lshlrev_b64 v[2:3], 3, v[2:3]
	v_mov_b32_e32 v5, s7
	v_add_co_u32_e32 v2, vcc, s6, v2
	v_addc_co_u32_e32 v3, vcc, v5, v3, vcc
	global_load_dwordx2 v[5:6], v[2:3], off offset:648
	global_load_dwordx2 v[7:8], v[2:3], off offset:1296
	global_load_dwordx2 v[9:10], v[2:3], off offset:1944
	global_load_dwordx2 v[11:12], v[2:3], off offset:2592
	ds_write_b64 v64, v[0:1]
	ds_read_b64 v[0:1], v64 offset:648
	ds_read_b64 v[13:14], v4 offset:18792
	global_load_dwordx2 v[15:16], v[2:3], off offset:3240
	s_movk_i32 s4, 0x1000
	s_movk_i32 s5, 0x2000
	v_add_u32_e32 v65, 0xc00, v64
	s_waitcnt lgkmcnt(0)
	v_add_f32_e32 v17, v0, v13
	v_add_f32_e32 v18, v14, v1
	v_sub_f32_e32 v19, v0, v13
	v_sub_f32_e32 v0, v1, v14
	v_add_u32_e32 v68, 0x1c00, v64
	v_add_u32_e32 v61, 0x2c00, v64
	;; [unrolled: 1-line block ×8, first 2 shown]
	s_mov_b32 s6, 0x3f737871
	v_mul_u32_u24_e32 v105, 10, v60
	v_lshl_add_u32 v105, v105, 3, 0
	v_add_u32_e32 v73, 0x1000, v64
	v_add_u32_e32 v75, 0x2000, v64
	;; [unrolled: 1-line block ×4, first 2 shown]
	s_mov_b32 s10, 0x3f167918
	s_mov_b32 s7, 0xbf167918
	v_add_u32_e32 v106, 0x1950, v105
	s_waitcnt vmcnt(4)
	v_fma_f32 v20, v19, v6, v17
	v_fma_f32 v1, v18, v6, v0
	v_fma_f32 v13, -v19, v6, v17
	v_fma_f32 v14, v18, v6, -v0
	v_fma_f32 v0, -v5, v18, v20
	v_fmac_f32_e32 v1, v19, v5
	v_fmac_f32_e32 v13, v5, v18
	;; [unrolled: 1-line block ×3, first 2 shown]
	ds_write_b64 v64, v[0:1] offset:648
	ds_write_b64 v4, v[13:14] offset:18792
	ds_read_b64 v[0:1], v64 offset:1296
	ds_read_b64 v[5:6], v4 offset:18144
	global_load_dwordx2 v[13:14], v[2:3], off offset:3888
	s_waitcnt lgkmcnt(0)
	v_add_f32_e32 v17, v0, v5
	v_add_f32_e32 v18, v6, v1
	v_sub_f32_e32 v19, v0, v5
	v_sub_f32_e32 v0, v1, v6
	s_waitcnt vmcnt(4)
	v_fma_f32 v20, v19, v8, v17
	v_fma_f32 v1, v18, v8, v0
	v_fma_f32 v5, -v19, v8, v17
	v_fma_f32 v6, v18, v8, -v0
	v_fma_f32 v0, -v7, v18, v20
	v_fmac_f32_e32 v1, v19, v7
	v_fmac_f32_e32 v5, v7, v18
	;; [unrolled: 1-line block ×3, first 2 shown]
	v_add_co_u32_e32 v7, vcc, s4, v2
	ds_write_b64 v64, v[0:1] offset:1296
	ds_write_b64 v4, v[5:6] offset:18144
	v_addc_co_u32_e32 v8, vcc, 0, v3, vcc
	ds_read_b64 v[0:1], v64 offset:1944
	ds_read_b64 v[5:6], v4 offset:17496
	global_load_dwordx2 v[17:18], v[7:8], off offset:440
	v_add_co_u32_e32 v2, vcc, s5, v2
	v_addc_co_u32_e32 v3, vcc, 0, v3, vcc
	s_waitcnt lgkmcnt(0)
	v_add_f32_e32 v19, v0, v5
	v_add_f32_e32 v20, v6, v1
	v_sub_f32_e32 v21, v0, v5
	v_sub_f32_e32 v0, v1, v6
	s_waitcnt vmcnt(4)
	v_fma_f32 v22, v21, v10, v19
	v_fma_f32 v1, v20, v10, v0
	v_fma_f32 v5, -v21, v10, v19
	v_fma_f32 v6, v20, v10, -v0
	v_fma_f32 v0, -v9, v20, v22
	v_fmac_f32_e32 v1, v21, v9
	v_fmac_f32_e32 v5, v9, v20
	;; [unrolled: 1-line block ×3, first 2 shown]
	ds_write_b64 v64, v[0:1] offset:1944
	ds_write_b64 v4, v[5:6] offset:17496
	ds_read_b64 v[0:1], v64 offset:2592
	ds_read_b64 v[5:6], v4 offset:16848
	global_load_dwordx2 v[9:10], v[7:8], off offset:1088
	s_mov_b32 s5, 0xbf737871
	s_waitcnt lgkmcnt(0)
	v_add_f32_e32 v19, v0, v5
	v_add_f32_e32 v20, v6, v1
	v_sub_f32_e32 v21, v0, v5
	v_sub_f32_e32 v0, v1, v6
	s_waitcnt vmcnt(4)
	v_fma_f32 v22, v21, v12, v19
	v_fma_f32 v1, v20, v12, v0
	v_fma_f32 v5, -v21, v12, v19
	v_fma_f32 v6, v20, v12, -v0
	v_fma_f32 v0, -v11, v20, v22
	v_fmac_f32_e32 v1, v21, v11
	v_fmac_f32_e32 v5, v11, v20
	v_fmac_f32_e32 v6, v21, v11
	ds_write_b64 v64, v[0:1] offset:2592
	ds_write_b64 v4, v[5:6] offset:16848
	ds_read_b64 v[0:1], v64 offset:3240
	ds_read_b64 v[5:6], v4 offset:16200
	global_load_dwordx2 v[11:12], v[7:8], off offset:1736
	s_waitcnt lgkmcnt(0)
	v_add_f32_e32 v19, v0, v5
	v_add_f32_e32 v20, v6, v1
	v_sub_f32_e32 v21, v0, v5
	v_sub_f32_e32 v0, v1, v6
	s_waitcnt vmcnt(4)
	v_fma_f32 v22, v21, v16, v19
	v_fma_f32 v1, v20, v16, v0
	v_fma_f32 v5, -v21, v16, v19
	v_fma_f32 v6, v20, v16, -v0
	v_fma_f32 v0, -v15, v20, v22
	v_fmac_f32_e32 v1, v21, v15
	v_fmac_f32_e32 v5, v15, v20
	v_fmac_f32_e32 v6, v21, v15
	ds_write_b64 v64, v[0:1] offset:3240
	ds_write_b64 v4, v[5:6] offset:16200
	ds_read_b64 v[0:1], v64 offset:3888
	ds_read_b64 v[5:6], v4 offset:15552
	global_load_dwordx2 v[15:16], v[7:8], off offset:2384
	;; [unrolled: 19-line block ×4, first 2 shown]
	s_waitcnt lgkmcnt(0)
	v_add_f32_e32 v17, v0, v5
	v_add_f32_e32 v18, v6, v1
	v_sub_f32_e32 v19, v0, v5
	v_sub_f32_e32 v0, v1, v6
	s_waitcnt vmcnt(4)
	v_fma_f32 v20, v19, v10, v17
	v_fma_f32 v1, v18, v10, v0
	v_fma_f32 v5, -v19, v10, v17
	v_fma_f32 v6, v18, v10, -v0
	v_fma_f32 v0, -v9, v18, v20
	v_fmac_f32_e32 v1, v19, v9
	v_fmac_f32_e32 v5, v9, v18
	;; [unrolled: 1-line block ×3, first 2 shown]
	ds_write_b64 v64, v[0:1] offset:5184
	ds_write_b64 v4, v[5:6] offset:14256
	ds_read_b64 v[0:1], v64 offset:5832
	ds_read_b64 v[5:6], v4 offset:13608
	s_waitcnt lgkmcnt(0)
	v_add_f32_e32 v9, v0, v5
	v_add_f32_e32 v10, v6, v1
	v_sub_f32_e32 v17, v0, v5
	v_sub_f32_e32 v18, v1, v6
	global_load_dwordx2 v[5:6], v[2:3], off offset:232
	s_waitcnt vmcnt(4)
	v_fma_f32 v0, v17, v12, v9
	v_fma_f32 v1, v10, v12, v18
	v_fma_f32 v0, -v11, v10, v0
	v_fmac_f32_e32 v1, v17, v11
	ds_write_b64 v64, v[0:1] offset:5832
	v_fma_f32 v0, -v17, v12, v9
	v_fma_f32 v1, v10, v12, -v18
	v_fmac_f32_e32 v0, v11, v10
	v_fmac_f32_e32 v1, v17, v11
	ds_write_b64 v4, v[0:1] offset:13608
	ds_read_b64 v[0:1], v64 offset:6480
	ds_read_b64 v[9:10], v4 offset:12960
	s_waitcnt lgkmcnt(0)
	v_add_f32_e32 v11, v0, v9
	v_add_f32_e32 v12, v10, v1
	v_sub_f32_e32 v9, v0, v9
	v_sub_f32_e32 v10, v1, v10
	global_load_dwordx2 v[0:1], v[2:3], off offset:880
	s_waitcnt vmcnt(4)
	v_fma_f32 v17, v9, v16, v11
	v_fma_f32 v3, v12, v16, v10
	v_fma_f32 v2, -v15, v12, v17
	v_fmac_f32_e32 v3, v9, v15
	ds_write_b64 v64, v[2:3] offset:6480
	v_fma_f32 v2, -v9, v16, v11
	v_fma_f32 v3, v12, v16, -v10
	v_fmac_f32_e32 v2, v15, v12
	v_fmac_f32_e32 v3, v9, v15
	ds_write_b64 v4, v[2:3] offset:12960
	ds_read_b64 v[2:3], v64 offset:7128
	ds_read_b64 v[9:10], v4 offset:12312
	s_waitcnt lgkmcnt(0)
	v_add_f32_e32 v11, v2, v9
	v_add_f32_e32 v12, v10, v3
	v_sub_f32_e32 v9, v2, v9
	v_sub_f32_e32 v10, v3, v10
	s_waitcnt vmcnt(3)
	v_fma_f32 v2, v9, v14, v11
	v_fma_f32 v3, v12, v14, v10
	v_fma_f32 v2, -v13, v12, v2
	v_fmac_f32_e32 v3, v9, v13
	ds_write_b64 v64, v[2:3] offset:7128
	v_fma_f32 v2, -v9, v14, v11
	v_fma_f32 v3, v12, v14, -v10
	v_fmac_f32_e32 v2, v13, v12
	v_fmac_f32_e32 v3, v9, v13
	ds_write_b64 v4, v[2:3] offset:12312
	ds_read_b64 v[2:3], v64 offset:7776
	ds_read_b64 v[9:10], v4 offset:11664
	s_waitcnt lgkmcnt(0)
	v_add_f32_e32 v11, v2, v9
	v_add_f32_e32 v12, v10, v3
	v_sub_f32_e32 v9, v2, v9
	v_sub_f32_e32 v10, v3, v10
	;; [unrolled: 18-line block ×4, first 2 shown]
	s_waitcnt vmcnt(0)
	v_fma_f32 v2, v5, v1, v7
	v_fma_f32 v3, v8, v1, v6
	v_fma_f32 v2, -v0, v8, v2
	v_fmac_f32_e32 v3, v5, v0
	ds_write_b64 v64, v[2:3] offset:9072
	v_fma_f32 v2, -v5, v1, v7
	v_fma_f32 v3, v8, v1, -v6
	v_fmac_f32_e32 v2, v0, v8
	v_fmac_f32_e32 v3, v5, v0
	ds_write_b64 v4, v[2:3] offset:10368
	s_waitcnt lgkmcnt(0)
	s_barrier
	s_barrier
	ds_read2_b64 v[0:3], v65 offset0:102 offset1:183
	ds_read2_b64 v[8:11], v68 offset0:76 offset1:157
	;; [unrolled: 1-line block ×9, first 2 shown]
	s_waitcnt lgkmcnt(7)
	v_sub_f32_e32 v16, v2, v10
	ds_read2_b64 v[20:23], v64 offset1:81
	s_waitcnt lgkmcnt(6)
	v_sub_f32_e32 v17, v14, v6
	v_add_f32_e32 v77, v16, v17
	v_sub_f32_e32 v16, v3, v11
	v_sub_f32_e32 v17, v15, v7
	v_add_f32_e32 v82, v16, v17
	s_waitcnt lgkmcnt(4)
	v_sub_f32_e32 v16, v24, v36
	s_waitcnt lgkmcnt(2)
	v_sub_f32_e32 v17, v52, v56
	v_add_f32_e32 v83, v16, v17
	v_sub_f32_e32 v16, v25, v37
	v_sub_f32_e32 v17, v53, v57
	v_add_f32_e32 v84, v16, v17
	v_add_f32_e32 v16, v36, v56
	s_waitcnt lgkmcnt(1)
	v_fma_f32 v85, -0.5, v16, v48
	v_sub_f32_e32 v86, v25, v53
	v_mov_b32_e32 v16, v85
	v_fmac_f32_e32 v16, 0x3f737871, v86
	v_sub_f32_e32 v87, v37, v57
	v_fmac_f32_e32 v16, 0x3f167918, v87
	v_fmac_f32_e32 v16, 0x3e9e377a, v83
	v_mul_f32_e32 v91, 0x3f4f1bbd, v16
	v_mul_f32_e32 v92, 0xbf167918, v16
	s_waitcnt lgkmcnt(0)
	v_add_f32_e32 v16, v22, v2
	v_add_f32_e32 v16, v16, v10
	v_add_f32_e32 v16, v16, v6
	v_add_f32_e32 v93, v16, v14
	v_add_f32_e32 v16, v10, v6
	v_fma_f32 v94, -0.5, v16, v22
	v_add_f32_e32 v16, v23, v3
	v_add_f32_e32 v16, v16, v11
	v_add_f32_e32 v16, v16, v7
	v_sub_f32_e32 v100, v2, v14
	v_sub_f32_e32 v102, v10, v6
	v_sub_f32_e32 v10, v10, v2
	v_sub_f32_e32 v6, v6, v14
	v_add_f32_e32 v2, v2, v14
	v_add_f32_e32 v98, v16, v15
	;; [unrolled: 1-line block ×4, first 2 shown]
	v_fma_f32 v10, -0.5, v2, v22
	v_add_f32_e32 v2, v3, v15
	v_fma_f32 v99, -0.5, v16, v23
	v_fmac_f32_e32 v23, -0.5, v2
	v_sub_f32_e32 v97, v11, v7
	v_sub_f32_e32 v2, v11, v3
	v_mov_b32_e32 v11, v23
	v_sub_f32_e32 v95, v3, v15
	v_sub_f32_e32 v3, v7, v15
	v_fmac_f32_e32 v11, 0x3f737871, v102
	v_fmac_f32_e32 v23, 0xbf737871, v102
	v_add_f32_e32 v2, v2, v3
	v_fmac_f32_e32 v11, 0xbf167918, v100
	v_fmac_f32_e32 v23, 0x3f167918, v100
	v_mov_b32_e32 v14, v10
	v_fmac_f32_e32 v11, 0x3e9e377a, v2
	v_fmac_f32_e32 v23, 0x3e9e377a, v2
	v_sub_f32_e32 v2, v36, v24
	v_sub_f32_e32 v3, v56, v52
	v_fmac_f32_e32 v14, 0xbf737871, v97
	v_fmac_f32_e32 v10, 0x3f737871, v97
	v_add_f32_e32 v2, v2, v3
	v_add_f32_e32 v3, v24, v52
	v_fmac_f32_e32 v14, 0x3f167918, v95
	v_fmac_f32_e32 v10, 0xbf167918, v95
	v_fma_f32 v3, -0.5, v3, v48
	v_fmac_f32_e32 v14, 0x3e9e377a, v6
	v_fmac_f32_e32 v10, 0x3e9e377a, v6
	v_mov_b32_e32 v6, v3
	v_fmac_f32_e32 v6, 0xbf737871, v87
	v_fmac_f32_e32 v3, 0x3f737871, v87
	;; [unrolled: 1-line block ×6, first 2 shown]
	v_sub_f32_e32 v2, v37, v25
	v_sub_f32_e32 v7, v57, v53
	v_add_f32_e32 v2, v2, v7
	v_add_f32_e32 v7, v25, v53
	v_fma_f32 v7, -0.5, v7, v49
	v_sub_f32_e32 v90, v36, v56
	v_mov_b32_e32 v15, v7
	v_add_f32_e32 v17, v37, v57
	v_sub_f32_e32 v89, v24, v52
	v_add_f32_e32 v16, v48, v24
	v_fmac_f32_e32 v15, 0x3f737871, v90
	v_fmac_f32_e32 v7, 0xbf737871, v90
	v_fma_f32 v88, -0.5, v17, v49
	v_add_f32_e32 v16, v16, v36
	v_fmac_f32_e32 v15, 0xbf167918, v89
	v_fmac_f32_e32 v7, 0x3f167918, v89
	v_mov_b32_e32 v17, v88
	v_add_f32_e32 v16, v16, v56
	v_fmac_f32_e32 v15, 0x3e9e377a, v2
	v_fmac_f32_e32 v7, 0x3e9e377a, v2
	v_mul_f32_e32 v24, 0xbf737871, v6
	v_mul_f32_e32 v2, 0x3e9e377a, v3
	v_fmac_f32_e32 v17, 0xbf737871, v89
	v_add_f32_e32 v103, v16, v52
	v_add_f32_e32 v16, v49, v25
	v_mul_f32_e32 v22, 0x3f737871, v15
	v_fmac_f32_e32 v24, 0x3e9e377a, v15
	v_fma_f32 v15, v7, s6, -v2
	v_mul_f32_e32 v2, 0x3e9e377a, v7
	v_fmac_f32_e32 v85, 0xbf737871, v86
	v_fmac_f32_e32 v17, 0xbf167918, v90
	v_add_f32_e32 v16, v16, v37
	v_fmac_f32_e32 v22, 0x3e9e377a, v6
	v_fma_f32 v25, v3, s5, -v2
	v_fmac_f32_e32 v85, 0xbf167918, v87
	v_fmac_f32_e32 v88, 0x3f737871, v89
	;; [unrolled: 1-line block ×3, first 2 shown]
	v_add_f32_e32 v16, v16, v57
	v_add_f32_e32 v2, v14, v22
	;; [unrolled: 1-line block ×5, first 2 shown]
	v_add_u32_e32 v36, 0x1960, v105
	v_fmac_f32_e32 v85, 0x3e9e377a, v83
	v_fmac_f32_e32 v88, 0x3f167918, v90
	;; [unrolled: 1-line block ×4, first 2 shown]
	v_mov_b32_e32 v96, v94
	v_mov_b32_e32 v101, v99
	v_add_f32_e32 v104, v16, v53
	ds_read2_b64 v[16:19], v64 offset0:162 offset1:243
	ds_read2_b64 v[40:43], v73 offset0:136 offset1:217
	;; [unrolled: 1-line block ×5, first 2 shown]
	s_waitcnt lgkmcnt(0)
	s_barrier
	ds_write2_b64 v36, v[2:3], v[6:7] offset1:1
	v_fmac_f32_e32 v94, 0xbf737871, v95
	v_fmac_f32_e32 v99, 0x3f737871, v100
	;; [unrolled: 1-line block ×3, first 2 shown]
	v_mul_f32_e32 v6, 0x3f4f1bbd, v85
	v_fmac_f32_e32 v96, 0x3f737871, v95
	v_fmac_f32_e32 v101, 0xbf737871, v100
	;; [unrolled: 1-line block ×4, first 2 shown]
	v_fma_f32 v36, v88, s10, -v6
	v_mul_f32_e32 v6, 0x3f4f1bbd, v88
	v_fmac_f32_e32 v96, 0x3f167918, v97
	v_fmac_f32_e32 v101, 0xbf167918, v102
	;; [unrolled: 1-line block ×4, first 2 shown]
	v_fma_f32 v37, v85, s7, -v6
	v_fmac_f32_e32 v96, 0x3e9e377a, v77
	v_fmac_f32_e32 v101, 0x3e9e377a, v82
	v_sub_f32_e32 v2, v93, v103
	v_sub_f32_e32 v3, v98, v104
	v_add_f32_e32 v6, v94, v36
	v_add_f32_e32 v7, v99, v37
	v_add_u32_e32 v48, 0x1970, v105
	ds_write2_b64 v48, v[6:7], v[2:3] offset1:1
	v_sub_f32_e32 v2, v96, v91
	v_sub_f32_e32 v3, v101, v92
	;; [unrolled: 1-line block ×4, first 2 shown]
	v_add_u32_e32 v11, 0x1980, v105
	ds_write2_b64 v11, v[2:3], v[6:7] offset1:1
	v_sub_f32_e32 v2, v94, v36
	v_sub_f32_e32 v3, v99, v37
	;; [unrolled: 1-line block ×4, first 2 shown]
	v_add_u32_e32 v10, 0x1990, v105
	ds_write2_b64 v10, v[6:7], v[2:3] offset1:1
	v_add_f32_e32 v2, v50, v26
	v_add_f32_e32 v3, v51, v27
	;; [unrolled: 1-line block ×7, first 2 shown]
	v_sub_f32_e32 v7, v26, v38
	v_sub_f32_e32 v11, v38, v26
	;; [unrolled: 1-line block ×5, first 2 shown]
	v_add_f32_e32 v48, v2, v54
	v_add_f32_e32 v49, v3, v55
	v_sub_f32_e32 v2, v40, v44
	v_sub_f32_e32 v3, v28, v32
	v_add_f32_e32 v52, v2, v3
	v_sub_f32_e32 v2, v41, v45
	v_sub_f32_e32 v3, v29, v33
	v_add_f32_e32 v22, v22, v38
	v_fma_f32 v38, -0.5, v6, v50
	v_sub_f32_e32 v24, v27, v55
	v_add_f32_e32 v53, v2, v3
	v_mov_b32_e32 v2, v38
	v_sub_f32_e32 v10, v39, v59
	v_sub_f32_e32 v36, v54, v58
	v_fmac_f32_e32 v2, 0x3f737871, v24
	v_add_f32_e32 v36, v7, v36
	v_fmac_f32_e32 v2, 0x3f167918, v10
	v_fmac_f32_e32 v2, 0x3e9e377a, v36
	v_add_f32_e32 v14, v39, v59
	v_sub_f32_e32 v23, v39, v27
	v_add_f32_e32 v25, v26, v54
	v_sub_f32_e32 v26, v26, v54
	;; [unrolled: 2-line block ×3, first 2 shown]
	v_sub_f32_e32 v39, v59, v55
	v_mul_f32_e32 v54, 0x3f4f1bbd, v2
	v_mul_f32_e32 v55, 0xbf167918, v2
	v_add_f32_e32 v2, v16, v40
	v_add_f32_e32 v2, v2, v44
	;; [unrolled: 1-line block ×5, first 2 shown]
	v_fma_f32 v57, -0.5, v2, v16
	v_add_f32_e32 v2, v17, v41
	v_add_f32_e32 v2, v2, v45
	;; [unrolled: 1-line block ×7, first 2 shown]
	ds_write2_b64 v106, v[78:79], v[80:81] offset1:1
	v_fma_f32 v14, -0.5, v14, v51
	v_add_f32_e32 v78, v2, v29
	v_add_f32_e32 v2, v45, v33
	v_mov_b32_e32 v3, v14
	v_fma_f32 v79, -0.5, v2, v17
	v_fmac_f32_e32 v3, 0xbf737871, v26
	v_sub_f32_e32 v58, v41, v29
	v_mov_b32_e32 v59, v57
	v_sub_f32_e32 v80, v40, v28
	v_mov_b32_e32 v81, v79
	v_sub_f32_e32 v82, v44, v32
	v_sub_f32_e32 v32, v32, v28
	v_add_f32_e32 v28, v40, v28
	v_fmac_f32_e32 v3, 0xbf167918, v15
	v_fmac_f32_e32 v59, 0x3f737871, v58
	v_sub_f32_e32 v77, v45, v33
	v_fmac_f32_e32 v81, 0xbf737871, v80
	v_fma_f32 v16, -0.5, v28, v16
	v_fmac_f32_e32 v3, 0x3e9e377a, v22
	v_fmac_f32_e32 v59, 0x3f167918, v77
	;; [unrolled: 1-line block ×3, first 2 shown]
	v_mov_b32_e32 v28, v16
	v_fmac_f32_e32 v54, 0x3f167918, v3
	v_fmac_f32_e32 v55, 0x3f4f1bbd, v3
	;; [unrolled: 1-line block ×4, first 2 shown]
	v_fmac_f32_e32 v51, -0.5, v27
	v_sub_f32_e32 v27, v44, v40
	v_fmac_f32_e32 v28, 0xbf737871, v77
	v_fmac_f32_e32 v16, 0x3f737871, v77
	v_add_f32_e32 v2, v56, v48
	v_add_f32_e32 v3, v78, v49
	;; [unrolled: 1-line block ×4, first 2 shown]
	v_add_u32_e32 v83, 0x32a0, v105
	v_add_f32_e32 v27, v27, v32
	v_fmac_f32_e32 v28, 0x3f167918, v58
	v_fmac_f32_e32 v16, 0xbf167918, v58
	ds_write2_b64 v83, v[2:3], v[6:7] offset1:1
	v_fma_f32 v6, -0.5, v25, v50
	v_fmac_f32_e32 v28, 0x3e9e377a, v27
	v_fmac_f32_e32 v16, 0x3e9e377a, v27
	v_add_f32_e32 v27, v41, v29
	v_add_f32_e32 v2, v11, v37
	v_mov_b32_e32 v7, v6
	v_mov_b32_e32 v11, v51
	v_fmac_f32_e32 v17, -0.5, v27
	v_sub_f32_e32 v27, v45, v41
	v_sub_f32_e32 v29, v33, v29
	v_fmac_f32_e32 v6, 0x3f737871, v10
	v_fmac_f32_e32 v51, 0xbf737871, v15
	v_add_f32_e32 v27, v27, v29
	v_mov_b32_e32 v29, v17
	v_fmac_f32_e32 v7, 0xbf737871, v10
	v_fmac_f32_e32 v11, 0x3f737871, v15
	v_add_f32_e32 v3, v23, v39
	v_fmac_f32_e32 v6, 0xbf167918, v24
	v_fmac_f32_e32 v51, 0x3f167918, v26
	v_fmac_f32_e32 v29, 0x3f737871, v82
	v_fmac_f32_e32 v17, 0xbf737871, v82
	v_fmac_f32_e32 v7, 0x3f167918, v24
	v_fmac_f32_e32 v11, 0xbf167918, v26
	v_fmac_f32_e32 v6, 0x3e9e377a, v2
	v_fmac_f32_e32 v51, 0x3e9e377a, v3
	v_fmac_f32_e32 v29, 0xbf167918, v80
	v_fmac_f32_e32 v17, 0x3f167918, v80
	v_fmac_f32_e32 v7, 0x3e9e377a, v2
	v_fmac_f32_e32 v11, 0x3e9e377a, v3
	v_mul_f32_e32 v23, 0x3e9e377a, v6
	v_mul_f32_e32 v25, 0x3e9e377a, v51
	v_fmac_f32_e32 v29, 0x3e9e377a, v27
	v_fmac_f32_e32 v17, 0x3e9e377a, v27
	v_mul_f32_e32 v27, 0x3f737871, v11
	v_mul_f32_e32 v32, 0xbf737871, v7
	v_fmac_f32_e32 v38, 0xbf737871, v24
	v_fma_f32 v23, v51, s6, -v23
	v_fmac_f32_e32 v27, 0x3e9e377a, v7
	v_fmac_f32_e32 v32, 0x3e9e377a, v11
	v_fma_f32 v11, v6, s5, -v25
	v_fmac_f32_e32 v38, 0xbf167918, v10
	v_fmac_f32_e32 v14, 0x3f737871, v26
	v_add_f32_e32 v2, v28, v27
	v_add_f32_e32 v3, v29, v32
	;; [unrolled: 1-line block ×4, first 2 shown]
	v_add_u32_e32 v25, 0x32b0, v105
	v_fmac_f32_e32 v38, 0x3e9e377a, v36
	v_fmac_f32_e32 v14, 0x3f167918, v15
	ds_write2_b64 v25, v[2:3], v[6:7] offset1:1
	v_fmac_f32_e32 v57, 0xbf737871, v58
	v_fmac_f32_e32 v79, 0x3f737871, v80
	v_fmac_f32_e32 v14, 0x3e9e377a, v22
	v_mul_f32_e32 v6, 0x3f4f1bbd, v38
	v_fmac_f32_e32 v57, 0xbf167918, v77
	v_fmac_f32_e32 v79, 0x3f167918, v82
	v_fma_f32 v10, v14, s10, -v6
	v_mul_f32_e32 v6, 0x3f4f1bbd, v14
	v_fmac_f32_e32 v57, 0x3e9e377a, v52
	v_fmac_f32_e32 v79, 0x3e9e377a, v53
	v_fma_f32 v14, v38, s7, -v6
	v_sub_f32_e32 v2, v56, v48
	v_sub_f32_e32 v3, v78, v49
	v_add_f32_e32 v6, v57, v10
	v_add_f32_e32 v7, v79, v14
	v_add_u32_e32 v15, 0x32c0, v105
	ds_write2_b64 v15, v[6:7], v[2:3] offset1:1
	v_add_f32_e32 v2, v20, v0
	v_add_f32_e32 v3, v21, v1
	;; [unrolled: 1-line block ×4, first 2 shown]
	v_sub_f32_e32 v15, v0, v8
	v_sub_f32_e32 v22, v8, v0
	v_add_f32_e32 v24, v9, v5
	v_add_f32_e32 v33, v0, v12
	v_sub_f32_e32 v36, v0, v12
	v_add_f32_e32 v0, v1, v13
	v_sub_f32_e32 v7, v9, v5
	v_sub_f32_e32 v25, v1, v9
	;; [unrolled: 1-line block ×4, first 2 shown]
	v_add_f32_e32 v1, v2, v4
	v_add_f32_e32 v2, v3, v5
	v_fma_f32 v24, -0.5, v24, v21
	v_fma_f32 v21, -0.5, v0, v21
	v_add_f32_e32 v0, v18, v42
	v_add_f32_e32 v6, v8, v4
	v_sub_f32_e32 v8, v8, v4
	v_sub_f32_e32 v3, v12, v4
	;; [unrolled: 1-line block ×5, first 2 shown]
	v_add_f32_e32 v12, v1, v12
	v_add_f32_e32 v13, v2, v13
	;; [unrolled: 1-line block ×5, first 2 shown]
	v_sub_f32_e32 v38, v42, v46
	v_sub_f32_e32 v44, v43, v47
	;; [unrolled: 1-line block ×4, first 2 shown]
	v_add_f32_e32 v1, v1, v47
	v_add_f32_e32 v40, v47, v35
	;; [unrolled: 1-line block ×6, first 2 shown]
	v_fma_f32 v44, -0.5, v2, v18
	v_fma_f32 v6, -0.5, v6, v20
	;; [unrolled: 1-line block ×3, first 2 shown]
	v_sub_f32_e32 v33, v47, v35
	v_sub_f32_e32 v39, v46, v42
	;; [unrolled: 1-line block ×5, first 2 shown]
	v_add_f32_e32 v47, v42, v30
	v_sub_f32_e32 v42, v42, v30
	v_add_f32_e32 v1, v1, v35
	v_sub_f32_e32 v34, v34, v30
	v_add_f32_e32 v30, v0, v30
	v_mov_b32_e32 v0, v44
	v_fma_f32 v40, -0.5, v40, v19
	v_add_f32_e32 v43, v43, v31
	v_sub_f32_e32 v35, v35, v31
	v_add_f32_e32 v31, v1, v31
	v_fmac_f32_e32 v0, 0x3f737871, v46
	v_mov_b32_e32 v1, v40
	v_fmac_f32_e32 v0, 0x3f167918, v33
	v_fmac_f32_e32 v1, 0xbf737871, v42
	v_mov_b32_e32 v50, v6
	v_mov_b32_e32 v51, v24
	v_fmac_f32_e32 v0, 0x3e9e377a, v37
	v_fmac_f32_e32 v1, 0xbf167918, v41
	v_fmac_f32_e32 v50, 0x3f737871, v26
	v_fmac_f32_e32 v51, 0xbf737871, v36
	v_add_f32_e32 v15, v15, v3
	v_fmac_f32_e32 v1, 0x3e9e377a, v38
	v_mul_f32_e32 v48, 0x3f4f1bbd, v0
	v_mul_f32_e32 v49, 0xbf167918, v0
	v_fmac_f32_e32 v50, 0x3f167918, v7
	v_fmac_f32_e32 v51, 0xbf167918, v8
	;; [unrolled: 1-line block ×6, first 2 shown]
	v_add_f32_e32 v0, v12, v30
	v_add_f32_e32 v1, v13, v31
	;; [unrolled: 1-line block ×4, first 2 shown]
	ds_write2_b64 v105, v[0:1], v[2:3] offset1:1
	v_add_f32_e32 v0, v22, v4
	v_mov_b32_e32 v4, v20
	v_fmac_f32_e32 v4, 0xbf737871, v7
	v_fmac_f32_e32 v20, 0x3f737871, v7
	;; [unrolled: 1-line block ×6, first 2 shown]
	v_add_f32_e32 v0, v9, v5
	v_mov_b32_e32 v5, v21
	v_fma_f32 v1, -0.5, v47, v18
	v_fmac_f32_e32 v5, 0x3f737871, v8
	v_fmac_f32_e32 v21, 0xbf737871, v8
	v_mov_b32_e32 v2, v1
	v_fma_f32 v3, -0.5, v43, v19
	v_fmac_f32_e32 v5, 0xbf167918, v36
	v_fmac_f32_e32 v21, 0x3f167918, v36
	;; [unrolled: 1-line block ×4, first 2 shown]
	v_mov_b32_e32 v9, v3
	v_fmac_f32_e32 v5, 0x3e9e377a, v0
	v_fmac_f32_e32 v21, 0x3e9e377a, v0
	v_add_f32_e32 v0, v39, v34
	v_fmac_f32_e32 v2, 0x3f167918, v46
	v_fmac_f32_e32 v1, 0xbf167918, v46
	;; [unrolled: 1-line block ×6, first 2 shown]
	v_add_f32_e32 v0, v45, v35
	v_fmac_f32_e32 v9, 0xbf167918, v42
	v_fmac_f32_e32 v3, 0x3f167918, v42
	;; [unrolled: 1-line block ×4, first 2 shown]
	v_mul_f32_e32 v19, 0xbf737871, v2
	v_mul_f32_e32 v0, 0x3e9e377a, v1
	;; [unrolled: 1-line block ×3, first 2 shown]
	v_fmac_f32_e32 v19, 0x3e9e377a, v9
	v_fma_f32 v9, v3, s6, -v0
	v_mul_f32_e32 v0, 0x3e9e377a, v3
	v_fmac_f32_e32 v44, 0xbf737871, v46
	v_fmac_f32_e32 v18, 0x3e9e377a, v2
	v_fma_f32 v22, v1, s5, -v0
	v_fmac_f32_e32 v44, 0xbf167918, v33
	v_fmac_f32_e32 v40, 0x3f737871, v42
	v_add_f32_e32 v0, v4, v18
	v_add_f32_e32 v1, v5, v19
	;; [unrolled: 1-line block ×4, first 2 shown]
	v_fmac_f32_e32 v44, 0x3e9e377a, v37
	v_fmac_f32_e32 v40, 0x3f167918, v41
	ds_write2_b64 v105, v[0:1], v[2:3] offset0:2 offset1:3
	v_fmac_f32_e32 v6, 0xbf737871, v26
	v_fmac_f32_e32 v24, 0x3f737871, v36
	;; [unrolled: 1-line block ×3, first 2 shown]
	v_mul_f32_e32 v2, 0x3f4f1bbd, v44
	v_fmac_f32_e32 v6, 0xbf167918, v7
	v_fmac_f32_e32 v24, 0x3f167918, v8
	v_fma_f32 v7, v40, s10, -v2
	v_mul_f32_e32 v2, 0x3f4f1bbd, v40
	v_fmac_f32_e32 v6, 0x3e9e377a, v15
	v_fmac_f32_e32 v24, 0x3e9e377a, v25
	v_fma_f32 v8, v44, s7, -v2
	v_sub_f32_e32 v0, v12, v30
	v_sub_f32_e32 v1, v13, v31
	v_add_f32_e32 v2, v6, v7
	v_add_f32_e32 v3, v24, v8
	ds_write2_b64 v105, v[2:3], v[0:1] offset0:4 offset1:5
	v_sub_f32_e32 v0, v50, v48
	v_sub_f32_e32 v1, v51, v49
	v_sub_f32_e32 v2, v4, v18
	v_sub_f32_e32 v3, v5, v19
	ds_write2_b64 v105, v[0:1], v[2:3] offset0:6 offset1:7
	v_sub_f32_e32 v0, v20, v9
	v_sub_f32_e32 v1, v21, v22
	v_sub_f32_e32 v2, v6, v7
	v_sub_f32_e32 v3, v24, v8
	;; [unrolled: 5-line block ×3, first 2 shown]
	v_add_u32_e32 v9, 0x32d0, v105
	v_sub_f32_e32 v1, v17, v11
	v_sub_f32_e32 v0, v16, v23
	v_add_u32_e32 v6, 0x51, v60
	v_sub_f32_e32 v7, v57, v10
	v_sub_f32_e32 v8, v79, v14
	ds_write2_b64 v9, v[2:3], v[4:5] offset1:1
	v_add_u32_e32 v2, 0x32e0, v105
	s_movk_i32 s5, 0xcd
	ds_write2_b64 v2, v[0:1], v[7:8] offset1:1
	v_mul_lo_u16_sdwa v1, v6, s5 dst_sel:DWORD dst_unused:UNUSED_PAD src0_sel:BYTE_0 src1_sel:DWORD
	v_lshrrev_b16_e32 v21, 11, v1
	v_mul_lo_u16_e32 v1, 10, v21
	v_mov_b32_e32 v0, 4
	v_sub_u16_e32 v22, v6, v1
	v_lshlrev_b32_sdwa v1, v0, v22 dst_sel:DWORD dst_unused:UNUSED_PAD src0_sel:DWORD src1_sel:BYTE_0
	s_waitcnt lgkmcnt(0)
	s_barrier
	global_load_dwordx4 v[29:32], v1, s[8:9]
	v_add_u32_e32 v4, 0xa2, v60
	v_mul_lo_u16_sdwa v1, v4, s5 dst_sel:DWORD dst_unused:UNUSED_PAD src0_sel:BYTE_0 src1_sel:DWORD
	v_lshrrev_b16_e32 v3, 11, v1
	v_mul_lo_u16_e32 v1, 10, v3
	v_sub_u16_e32 v17, v4, v1
	v_lshlrev_b32_sdwa v1, v0, v17 dst_sel:DWORD dst_unused:UNUSED_PAD src0_sel:DWORD src1_sel:BYTE_0
	s_mov_b32 s6, 0xcccd
	v_add_u32_e32 v11, 0xf3, v60
	global_load_dwordx4 v[33:36], v1, s[8:9]
	v_mul_u32_u24_sdwa v1, v11, s6 dst_sel:DWORD dst_unused:UNUSED_PAD src0_sel:WORD_0 src1_sel:DWORD
	v_lshrrev_b32_e32 v7, 19, v1
	v_mul_lo_u16_e32 v1, 10, v7
	v_sub_u16_e32 v18, v11, v1
	v_lshlrev_b32_e32 v1, 4, v18
	v_add_u32_e32 v9, 0x144, v60
	global_load_dwordx4 v[37:40], v1, s[8:9]
	v_mul_u32_u24_sdwa v1, v9, s6 dst_sel:DWORD dst_unused:UNUSED_PAD src0_sel:WORD_0 src1_sel:DWORD
	v_lshrrev_b32_e32 v15, 19, v1
	v_mul_lo_u16_e32 v1, 10, v15
	v_sub_u16_e32 v19, v9, v1
	v_lshlrev_b32_e32 v1, 4, v19
	;; [unrolled: 7-line block ×6, first 2 shown]
	global_load_dwordx4 v[77:80], v5, s[8:9]
	v_mul_lo_u16_sdwa v5, v60, s5 dst_sel:DWORD dst_unused:UNUSED_PAD src0_sel:BYTE_0 src1_sel:DWORD
	ds_read2_b64 v[81:84], v69 offset0:123 offset1:204
	ds_read2_b64 v[85:88], v76 offset0:165 offset1:246
	v_lshrrev_b16_e32 v5, 11, v5
	v_mul_lo_u16_e32 v14, 10, v5
	v_sub_u16_e32 v57, v60, v14
	v_lshlrev_b32_sdwa v14, v0, v57 dst_sel:DWORD dst_unused:UNUSED_PAD src0_sel:DWORD src1_sel:BYTE_0
	global_load_dwordx4 v[89:92], v14, s[8:9]
	v_mul_u32_u24_e32 v21, 0xf0, v21
	v_mul_u32_u24_e32 v3, 0xf0, v3
	;; [unrolled: 1-line block ×4, first 2 shown]
	v_lshlrev_b32_e32 v19, 3, v19
	v_add3_u32 v15, 0, v15, v19
	v_mul_u32_u24_e32 v1, 0xf0, v1
	v_lshlrev_b32_e32 v2, 3, v2
	s_movk_i32 s5, 0x89
	s_waitcnt vmcnt(8) lgkmcnt(1)
	v_mul_f32_e32 v14, v82, v30
	v_fma_f32 v58, v81, v29, -v14
	v_add_u32_e32 v14, 0x2d9, v60
	v_mul_u32_u24_sdwa v27, v14, s6 dst_sel:DWORD dst_unused:UNUSED_PAD src0_sel:WORD_0 src1_sel:DWORD
	v_lshrrev_b32_e32 v27, 19, v27
	v_mul_lo_u16_e32 v28, 10, v27
	v_sub_u16_e32 v28, v14, v28
	v_mul_f32_e32 v59, v81, v30
	v_lshlrev_b32_e32 v30, 4, v28
	global_load_dwordx4 v[93:96], v30, s[8:9]
	v_fmac_f32_e32 v59, v82, v29
	s_waitcnt lgkmcnt(0)
	v_mul_f32_e32 v29, v86, v32
	v_fma_f32 v81, v85, v31, -v29
	s_waitcnt vmcnt(8)
	v_mul_f32_e32 v29, v84, v34
	v_mul_f32_e32 v82, v85, v32
	v_fma_f32 v85, v83, v33, -v29
	v_mul_f32_e32 v83, v83, v34
	v_fmac_f32_e32 v82, v86, v31
	v_fmac_f32_e32 v83, v84, v33
	v_mul_f32_e32 v33, v88, v36
	ds_read2_b64 v[29:32], v75 offset0:29 offset1:110
	v_mul_f32_e32 v86, v87, v36
	v_fma_f32 v84, v87, v35, -v33
	v_fmac_f32_e32 v86, v88, v35
	ds_read2_b64 v[33:36], v67 offset0:71 offset1:152
	s_waitcnt vmcnt(7) lgkmcnt(1)
	v_mul_f32_e32 v87, v30, v38
	v_fma_f32 v87, v29, v37, -v87
	v_mul_f32_e32 v88, v29, v38
	s_waitcnt vmcnt(6)
	v_mul_f32_e32 v100, v31, v42
	s_waitcnt lgkmcnt(0)
	v_mul_f32_e32 v29, v34, v40
	v_fma_f32 v97, v33, v39, -v29
	v_mul_f32_e32 v29, v32, v42
	v_fma_f32 v99, v31, v41, -v29
	;; [unrolled: 2-line block ×3, first 2 shown]
	v_add_u32_e32 v29, 0x2400, v64
	v_fmac_f32_e32 v88, v30, v37
	v_mul_f32_e32 v98, v33, v40
	v_fmac_f32_e32 v100, v32, v41
	ds_read2_b64 v[29:32], v29 offset0:63 offset1:144
	v_mul_f32_e32 v102, v35, v44
	v_add_u32_e32 v33, 0x3c00, v64
	v_fmac_f32_e32 v98, v34, v39
	v_fmac_f32_e32 v102, v36, v43
	ds_read2_b64 v[33:36], v33 offset0:105 offset1:186
	s_waitcnt vmcnt(5) lgkmcnt(1)
	v_mul_f32_e32 v37, v30, v46
	v_fma_f32 v103, v29, v45, -v37
	v_mul_f32_e32 v104, v29, v46
	s_waitcnt vmcnt(4)
	v_mul_f32_e32 v108, v31, v50
	s_waitcnt lgkmcnt(0)
	v_mul_f32_e32 v29, v34, v48
	v_fma_f32 v105, v33, v47, -v29
	v_mul_f32_e32 v29, v32, v50
	v_fmac_f32_e32 v104, v30, v45
	v_mul_f32_e32 v106, v33, v48
	v_fma_f32 v107, v31, v49, -v29
	v_fmac_f32_e32 v108, v32, v49
	v_mul_f32_e32 v33, v36, v52
	ds_read2_b64 v[29:32], v66 offset0:97 offset1:178
	v_mul_f32_e32 v110, v35, v52
	v_fmac_f32_e32 v106, v34, v47
	v_fma_f32 v109, v35, v51, -v33
	v_fmac_f32_e32 v110, v36, v51
	ds_read2_b64 v[33:36], v74 offset0:139 offset1:220
	s_waitcnt vmcnt(3) lgkmcnt(1)
	v_mul_f32_e32 v37, v30, v54
	v_fma_f32 v111, v29, v53, -v37
	v_mul_f32_e32 v54, v29, v54
	v_fmac_f32_e32 v54, v30, v53
	s_waitcnt lgkmcnt(0)
	v_mul_f32_e32 v29, v34, v56
	v_fma_f32 v53, v33, v55, -v29
	v_mul_f32_e32 v56, v33, v56
	s_waitcnt vmcnt(2)
	v_mul_f32_e32 v29, v32, v78
	v_fmac_f32_e32 v56, v34, v55
	v_fma_f32 v55, v31, v77, -v29
	v_mul_f32_e32 v78, v31, v78
	v_mul_f32_e32 v29, v36, v80
	ds_read2_b32 v[33:34], v69 offset0:84 offset1:85
	v_fmac_f32_e32 v78, v32, v77
	v_fma_f32 v77, v35, v79, -v29
	ds_read2_b64 v[29:32], v76 offset0:3 offset1:84
	v_mul_f32_e32 v80, v35, v80
	s_waitcnt vmcnt(1) lgkmcnt(1)
	v_mul_f32_e32 v35, v34, v90
	v_fmac_f32_e32 v80, v36, v79
	v_fma_f32 v35, v89, v33, -v35
	v_mul_f32_e32 v36, v90, v33
	s_waitcnt lgkmcnt(0)
	v_mul_f32_e32 v33, v32, v92
	v_fmac_f32_e32 v36, v34, v89
	v_fma_f32 v37, v31, v91, -v33
	v_mul_f32_e32 v38, v31, v92
	ds_read_b64 v[33:34], v64 offset:18792
	s_waitcnt vmcnt(0)
	v_mul_f32_e32 v31, v30, v94
	v_mul_f32_e32 v89, v29, v94
	v_fmac_f32_e32 v38, v32, v91
	v_fma_f32 v79, v29, v93, -v31
	v_fmac_f32_e32 v89, v30, v93
	ds_read2_b64 v[29:32], v64 offset1:81
	s_waitcnt lgkmcnt(1)
	v_mul_f32_e32 v39, v34, v96
	v_fma_f32 v90, v33, v95, -v39
	v_mul_f32_e32 v91, v33, v96
	v_fmac_f32_e32 v91, v34, v95
	s_waitcnt lgkmcnt(0)
	v_add_f32_e32 v33, v29, v35
	v_add_f32_e32 v49, v33, v37
	;; [unrolled: 1-line block ×6, first 2 shown]
	v_fma_f32 v29, -0.5, v34, v29
	v_fma_f32 v30, -0.5, v33, v30
	v_mul_u32_u24_e32 v33, 0xf0, v5
	v_mov_b32_e32 v5, 3
	v_sub_f32_e32 v92, v36, v38
	v_sub_f32_e32 v93, v35, v37
	v_lshlrev_b32_sdwa v34, v5, v57 dst_sel:DWORD dst_unused:UNUSED_PAD src0_sel:DWORD src1_sel:BYTE_0
	v_mov_b32_e32 v51, v29
	v_mov_b32_e32 v52, v30
	v_add3_u32 v57, 0, v33, v34
	v_fmac_f32_e32 v51, 0x3f5db3d7, v92
	v_fmac_f32_e32 v52, 0xbf5db3d7, v93
	;; [unrolled: 1-line block ×4, first 2 shown]
	ds_read2_b64 v[33:36], v64 offset0:162 offset1:243
	ds_read2_b64 v[37:40], v72 offset0:68 offset1:149
	;; [unrolled: 1-line block ×4, first 2 shown]
	s_waitcnt lgkmcnt(0)
	s_barrier
	ds_write2_b64 v57, v[49:50], v[51:52] offset1:10
	ds_write_b64 v57, v[29:30] offset:160
	v_add_f32_e32 v30, v58, v81
	v_add_f32_e32 v50, v59, v82
	;; [unrolled: 1-line block ×3, first 2 shown]
	v_fma_f32 v31, -0.5, v30, v31
	v_add_f32_e32 v30, v32, v59
	v_fmac_f32_e32 v32, -0.5, v50
	v_lshlrev_b32_sdwa v22, v5, v22 dst_sel:DWORD dst_unused:UNUSED_PAD src0_sel:DWORD src1_sel:BYTE_0
	v_sub_f32_e32 v49, v59, v82
	v_sub_f32_e32 v50, v58, v81
	v_add3_u32 v51, 0, v21, v22
	v_mov_b32_e32 v21, v31
	v_mov_b32_e32 v22, v32
	v_add_f32_e32 v29, v29, v81
	v_add_f32_e32 v30, v30, v82
	v_fmac_f32_e32 v21, 0x3f5db3d7, v49
	v_fmac_f32_e32 v22, 0xbf5db3d7, v50
	ds_write2_b64 v51, v[29:30], v[21:22] offset1:10
	v_add_f32_e32 v30, v83, v86
	v_add_f32_e32 v29, v85, v84
	v_fmac_f32_e32 v31, 0xbf5db3d7, v49
	v_fmac_f32_e32 v32, 0x3f5db3d7, v50
	v_fma_f32 v29, -0.5, v29, v33
	v_fma_f32 v30, -0.5, v30, v34
	ds_write_b64 v51, v[31:32] offset:160
	v_add_f32_e32 v21, v33, v85
	v_add_f32_e32 v22, v34, v83
	v_sub_f32_e32 v49, v83, v86
	v_sub_f32_e32 v33, v85, v84
	v_lshlrev_b32_sdwa v17, v5, v17 dst_sel:DWORD dst_unused:UNUSED_PAD src0_sel:DWORD src1_sel:BYTE_0
	v_mov_b32_e32 v31, v29
	v_mov_b32_e32 v32, v30
	v_add_f32_e32 v21, v21, v84
	v_add_f32_e32 v22, v22, v86
	v_add3_u32 v3, 0, v3, v17
	v_fmac_f32_e32 v31, 0x3f5db3d7, v49
	v_fmac_f32_e32 v32, 0xbf5db3d7, v33
	v_fmac_f32_e32 v29, 0xbf5db3d7, v49
	v_fmac_f32_e32 v30, 0x3f5db3d7, v33
	v_add_f32_e32 v17, v87, v97
	ds_write2_b64 v3, v[21:22], v[31:32] offset1:10
	ds_write_b64 v3, v[29:30] offset:160
	v_add_f32_e32 v3, v35, v87
	v_fma_f32 v35, -0.5, v17, v35
	v_add_f32_e32 v17, v88, v98
	v_add_f32_e32 v21, v3, v97
	;; [unrolled: 1-line block ×3, first 2 shown]
	v_fmac_f32_e32 v36, -0.5, v17
	v_lshlrev_b32_e32 v17, 3, v18
	v_add_f32_e32 v22, v3, v98
	v_sub_f32_e32 v3, v88, v98
	v_sub_f32_e32 v29, v87, v97
	v_add3_u32 v7, 0, v7, v17
	v_mov_b32_e32 v17, v35
	v_mov_b32_e32 v18, v36
	v_fmac_f32_e32 v17, 0x3f5db3d7, v3
	v_fmac_f32_e32 v18, 0xbf5db3d7, v29
	;; [unrolled: 1-line block ×4, first 2 shown]
	ds_write2_b64 v7, v[21:22], v[17:18] offset1:10
	ds_write_b64 v7, v[35:36] offset:160
	v_add_f32_e32 v7, v100, v102
	v_add_f32_e32 v3, v37, v99
	;; [unrolled: 1-line block ×3, first 2 shown]
	v_fma_f32 v22, -0.5, v7, v38
	v_add_f32_e32 v17, v3, v101
	v_add_f32_e32 v3, v38, v100
	v_fma_f32 v21, -0.5, v21, v37
	v_sub_f32_e32 v7, v99, v101
	v_mov_b32_e32 v30, v22
	v_add_f32_e32 v18, v3, v102
	v_sub_f32_e32 v3, v100, v102
	v_mov_b32_e32 v29, v21
	v_fmac_f32_e32 v30, 0xbf5db3d7, v7
	v_fmac_f32_e32 v22, 0x3f5db3d7, v7
	v_add_f32_e32 v7, v103, v105
	v_fmac_f32_e32 v29, 0x3f5db3d7, v3
	v_fmac_f32_e32 v21, 0xbf5db3d7, v3
	v_add_f32_e32 v3, v39, v103
	v_fma_f32 v39, -0.5, v7, v39
	v_add_f32_e32 v7, v104, v106
	ds_write2_b64 v15, v[17:18], v[29:30] offset1:10
	v_add_f32_e32 v17, v3, v105
	v_add_f32_e32 v3, v40, v104
	v_fmac_f32_e32 v40, -0.5, v7
	ds_write_b64 v15, v[21:22] offset:160
	v_add_f32_e32 v18, v3, v106
	v_sub_f32_e32 v3, v104, v106
	v_sub_f32_e32 v7, v103, v105
	v_add3_u32 v15, 0, v1, v2
	v_mov_b32_e32 v1, v39
	v_mov_b32_e32 v2, v40
	v_fmac_f32_e32 v1, 0x3f5db3d7, v3
	v_fmac_f32_e32 v2, 0xbf5db3d7, v7
	;; [unrolled: 1-line block ×4, first 2 shown]
	ds_write2_b64 v15, v[17:18], v[1:2] offset1:10
	ds_write_b64 v15, v[39:40] offset:160
	v_add_f32_e32 v7, v108, v110
	v_add_f32_e32 v15, v107, v109
	v_fma_f32 v17, -0.5, v15, v41
	v_fma_f32 v18, -0.5, v7, v42
	v_mul_u32_u24_e32 v15, 0xf0, v16
	v_lshlrev_b32_e32 v16, 3, v20
	v_add_f32_e32 v1, v41, v107
	v_add_f32_e32 v2, v42, v108
	v_sub_f32_e32 v3, v108, v110
	v_sub_f32_e32 v7, v107, v109
	v_add3_u32 v19, 0, v15, v16
	v_mov_b32_e32 v15, v17
	v_mov_b32_e32 v16, v18
	v_add_f32_e32 v1, v1, v109
	v_add_f32_e32 v2, v2, v110
	v_fmac_f32_e32 v15, 0x3f5db3d7, v3
	v_fmac_f32_e32 v16, 0xbf5db3d7, v7
	ds_write2_b64 v19, v[1:2], v[15:16] offset1:10
	v_fmac_f32_e32 v18, 0x3f5db3d7, v7
	v_add_f32_e32 v2, v111, v53
	v_add_f32_e32 v7, v54, v56
	v_fmac_f32_e32 v17, 0xbf5db3d7, v3
	v_add_f32_e32 v1, v43, v111
	v_fma_f32 v43, -0.5, v2, v43
	v_add_f32_e32 v2, v44, v54
	v_fmac_f32_e32 v44, -0.5, v7
	v_mul_u32_u24_e32 v15, 0xf0, v23
	v_lshlrev_b32_e32 v16, 3, v24
	ds_write_b64 v19, v[17:18] offset:160
	v_sub_f32_e32 v3, v54, v56
	v_sub_f32_e32 v7, v111, v53
	v_add3_u32 v17, 0, v15, v16
	v_mov_b32_e32 v15, v43
	v_mov_b32_e32 v16, v44
	v_add_f32_e32 v1, v1, v53
	v_add_f32_e32 v2, v2, v56
	v_fmac_f32_e32 v15, 0x3f5db3d7, v3
	v_fmac_f32_e32 v16, 0xbf5db3d7, v7
	ds_write2_b64 v17, v[1:2], v[15:16] offset1:10
	v_fmac_f32_e32 v43, 0xbf5db3d7, v3
	v_fmac_f32_e32 v44, 0x3f5db3d7, v7
	v_add_f32_e32 v7, v78, v80
	v_add_f32_e32 v15, v55, v77
	ds_write_b64 v17, v[43:44] offset:160
	v_fma_f32 v15, -0.5, v15, v45
	v_fma_f32 v16, -0.5, v7, v46
	v_mul_u32_u24_e32 v17, 0xf0, v25
	v_lshlrev_b32_e32 v18, 3, v26
	v_add_f32_e32 v1, v45, v55
	v_add_f32_e32 v2, v46, v78
	v_sub_f32_e32 v3, v78, v80
	v_sub_f32_e32 v7, v55, v77
	v_add3_u32 v19, 0, v17, v18
	v_mov_b32_e32 v17, v15
	v_mov_b32_e32 v18, v16
	v_add_f32_e32 v1, v1, v77
	v_add_f32_e32 v2, v2, v80
	v_fmac_f32_e32 v17, 0x3f5db3d7, v3
	v_fmac_f32_e32 v18, 0xbf5db3d7, v7
	ds_write2_b64 v19, v[1:2], v[17:18] offset1:10
	v_fmac_f32_e32 v15, 0xbf5db3d7, v3
	v_fmac_f32_e32 v16, 0x3f5db3d7, v7
	v_add_f32_e32 v2, v79, v90
	v_add_f32_e32 v7, v89, v91
	ds_write_b64 v19, v[15:16] offset:160
	v_add_f32_e32 v1, v47, v79
	v_fma_f32 v47, -0.5, v2, v47
	v_add_f32_e32 v2, v48, v89
	v_fmac_f32_e32 v48, -0.5, v7
	v_mul_u32_u24_e32 v15, 0xf0, v27
	v_lshlrev_b32_e32 v16, 3, v28
	v_sub_f32_e32 v3, v89, v91
	v_sub_f32_e32 v7, v79, v90
	v_add3_u32 v17, 0, v15, v16
	v_mov_b32_e32 v15, v47
	v_mov_b32_e32 v16, v48
	v_add_f32_e32 v1, v1, v90
	v_add_f32_e32 v2, v2, v91
	v_fmac_f32_e32 v15, 0x3f5db3d7, v3
	v_fmac_f32_e32 v16, 0xbf5db3d7, v7
	ds_write2_b64 v17, v[1:2], v[15:16] offset1:10
	v_mul_lo_u16_sdwa v1, v4, s5 dst_sel:DWORD dst_unused:UNUSED_PAD src0_sel:BYTE_0 src1_sel:DWORD
	v_mul_lo_u16_sdwa v59, v60, s5 dst_sel:DWORD dst_unused:UNUSED_PAD src0_sel:BYTE_0 src1_sel:DWORD
	v_lshrrev_b16_e32 v19, 12, v1
	v_lshrrev_b16_e32 v59, 12, v59
	v_mul_lo_u16_e32 v1, 30, v19
	v_mul_lo_u16_e32 v81, 30, v59
	v_sub_u16_e32 v20, v4, v1
	v_sub_u16_e32 v93, v60, v81
	v_fmac_f32_e32 v47, 0xbf5db3d7, v3
	v_fmac_f32_e32 v48, 0x3f5db3d7, v7
	v_lshlrev_b32_sdwa v1, v0, v20 dst_sel:DWORD dst_unused:UNUSED_PAD src0_sel:DWORD src1_sel:BYTE_0
	s_mov_b32 s6, 0x8889
	v_lshlrev_b32_sdwa v81, v0, v93 dst_sel:DWORD dst_unused:UNUSED_PAD src0_sel:DWORD src1_sel:BYTE_0
	ds_write_b64 v17, v[47:48] offset:160
	s_waitcnt lgkmcnt(0)
	s_barrier
	global_load_dwordx4 v[27:30], v1, s[8:9] offset:160
	v_mul_lo_u16_sdwa v89, v6, s5 dst_sel:DWORD dst_unused:UNUSED_PAD src0_sel:BYTE_0 src1_sel:DWORD
	global_load_dwordx4 v[81:84], v81, s[8:9] offset:160
	v_mul_u32_u24_sdwa v1, v11, s6 dst_sel:DWORD dst_unused:UNUSED_PAD src0_sel:WORD_0 src1_sel:DWORD
	v_lshrrev_b32_e32 v16, 20, v1
	v_lshrrev_b16_e32 v95, 12, v89
	v_mul_lo_u16_e32 v1, 30, v16
	v_mul_lo_u16_e32 v89, 30, v95
	v_sub_u16_e32 v18, v11, v1
	v_sub_u16_e32 v96, v6, v89
	v_lshlrev_b32_e32 v1, 4, v18
	v_lshlrev_b32_sdwa v89, v0, v96 dst_sel:DWORD dst_unused:UNUSED_PAD src0_sel:DWORD src1_sel:BYTE_0
	global_load_dwordx4 v[31:34], v1, s[8:9] offset:160
	ds_read2_b64 v[77:80], v68 offset0:76 offset1:157
	global_load_dwordx4 v[89:92], v89, s[8:9] offset:160
	v_mul_u32_u24_sdwa v1, v9, s6 dst_sel:DWORD dst_unused:UNUSED_PAD src0_sel:WORD_0 src1_sel:DWORD
	v_lshrrev_b32_e32 v15, 20, v1
	v_mul_lo_u16_e32 v1, 30, v15
	v_sub_u16_e32 v17, v9, v1
	v_lshlrev_b32_e32 v1, 4, v17
	global_load_dwordx4 v[35:38], v1, s[8:9] offset:160
	v_mul_u32_u24_sdwa v1, v10, s6 dst_sel:DWORD dst_unused:UNUSED_PAD src0_sel:WORD_0 src1_sel:DWORD
	v_lshrrev_b32_e32 v2, 20, v1
	v_mul_lo_u16_e32 v1, 30, v2
	v_sub_u16_e32 v7, v10, v1
	v_lshlrev_b32_e32 v1, 4, v7
	;; [unrolled: 6-line block ×6, first 2 shown]
	global_load_dwordx4 v[55:58], v55, s[8:9] offset:160
	ds_read2_b64 v[85:88], v71 offset0:118 offset1:199
	v_mul_u32_u24_e32 v19, 0x2d0, v19
	v_lshlrev_b32_sdwa v20, v5, v20 dst_sel:DWORD dst_unused:UNUSED_PAD src0_sel:DWORD src1_sel:BYTE_0
	v_mul_u32_u24_e32 v16, 0x2d0, v16
	v_lshlrev_b32_e32 v18, 3, v18
	v_add3_u32 v16, 0, v16, v18
	v_mul_u32_u24_e32 v15, 0x2d0, v15
	v_mul_u32_u24_e32 v2, 0x2d0, v2
	v_lshlrev_b32_e32 v7, 3, v7
	v_add3_u32 v2, 0, v2, v7
	v_mul_u32_u24_e32 v1, 0x2d0, v1
	s_movk_i32 s5, 0xb7
	s_waitcnt vmcnt(9) lgkmcnt(1)
	v_mul_f32_e32 v94, v78, v28
	v_fma_f32 v94, v77, v27, -v94
	v_mul_f32_e32 v77, v77, v28
	v_fmac_f32_e32 v77, v78, v27
	s_waitcnt lgkmcnt(0)
	v_mul_f32_e32 v27, v86, v30
	v_fma_f32 v78, v85, v29, -v27
	v_mul_f32_e32 v85, v85, v30
	v_fmac_f32_e32 v85, v86, v29
	s_waitcnt vmcnt(7)
	v_mul_f32_e32 v27, v80, v32
	v_fma_f32 v86, v79, v31, -v27
	v_mul_f32_e32 v79, v79, v32
	v_fmac_f32_e32 v79, v80, v31
	v_mul_f32_e32 v31, v88, v34
	ds_read2_b64 v[27:30], v75 offset0:110 offset1:191
	v_fma_f32 v80, v87, v33, -v31
	v_mul_f32_e32 v87, v87, v34
	v_fmac_f32_e32 v87, v88, v33
	ds_read2_b64 v[31:34], v67 offset0:152 offset1:233
	s_waitcnt vmcnt(5) lgkmcnt(1)
	v_mul_f32_e32 v88, v28, v36
	v_fma_f32 v88, v27, v35, -v88
	v_mul_f32_e32 v97, v27, v36
	v_fmac_f32_e32 v97, v28, v35
	s_waitcnt lgkmcnt(0)
	v_mul_f32_e32 v27, v32, v38
	v_fma_f32 v98, v31, v37, -v27
	s_waitcnt vmcnt(4)
	v_mul_f32_e32 v27, v30, v40
	v_mul_f32_e32 v101, v29, v40
	;; [unrolled: 1-line block ×3, first 2 shown]
	v_fma_f32 v100, v29, v39, -v27
	v_fmac_f32_e32 v101, v30, v39
	v_mul_f32_e32 v31, v34, v42
	ds_read2_b64 v[27:30], v66 offset0:16 offset1:97
	v_mul_f32_e32 v103, v33, v42
	v_fmac_f32_e32 v99, v32, v37
	v_fma_f32 v102, v33, v41, -v31
	v_fmac_f32_e32 v103, v34, v41
	ds_read2_b64 v[31:34], v74 offset0:58 offset1:139
	s_waitcnt vmcnt(3) lgkmcnt(1)
	v_mul_f32_e32 v35, v28, v44
	v_fma_f32 v104, v27, v43, -v35
	v_mul_f32_e32 v105, v27, v44
	s_waitcnt vmcnt(2)
	v_mul_f32_e32 v109, v29, v48
	s_waitcnt lgkmcnt(0)
	v_mul_f32_e32 v27, v32, v46
	v_fma_f32 v106, v31, v45, -v27
	v_mul_f32_e32 v27, v30, v48
	v_fmac_f32_e32 v105, v28, v43
	v_mul_f32_e32 v107, v31, v46
	v_fma_f32 v108, v29, v47, -v27
	v_fmac_f32_e32 v109, v30, v47
	v_mul_f32_e32 v31, v34, v50
	ds_read2_b64 v[27:30], v61 offset0:50 offset1:131
	v_mul_f32_e32 v111, v33, v50
	v_fmac_f32_e32 v107, v32, v45
	v_fma_f32 v110, v33, v49, -v31
	v_fmac_f32_e32 v111, v34, v49
	ds_read2_b64 v[31:34], v70 offset0:92 offset1:173
	s_waitcnt vmcnt(1) lgkmcnt(1)
	v_mul_f32_e32 v35, v28, v52
	v_fma_f32 v112, v27, v51, -v35
	v_mul_f32_e32 v52, v27, v52
	v_fmac_f32_e32 v52, v28, v51
	s_waitcnt lgkmcnt(0)
	v_mul_f32_e32 v27, v32, v54
	v_fma_f32 v51, v31, v53, -v27
	v_mul_f32_e32 v54, v31, v54
	s_waitcnt vmcnt(0)
	v_mul_f32_e32 v27, v30, v56
	v_fmac_f32_e32 v54, v32, v53
	v_fma_f32 v53, v29, v55, -v27
	v_mul_f32_e32 v56, v29, v56
	v_mul_f32_e32 v27, v34, v58
	ds_read_b64 v[31:32], v64 offset:6480
	v_fmac_f32_e32 v56, v30, v55
	v_fma_f32 v55, v33, v57, -v27
	ds_read2_b64 v[27:30], v76 offset0:84 offset1:165
	v_mul_f32_e32 v58, v33, v58
	s_waitcnt lgkmcnt(1)
	v_mul_f32_e32 v33, v82, v32
	v_fmac_f32_e32 v58, v34, v57
	v_fma_f32 v33, v81, v31, -v33
	v_mul_f32_e32 v34, v82, v31
	s_waitcnt lgkmcnt(0)
	v_mul_f32_e32 v31, v84, v28
	v_fmac_f32_e32 v34, v81, v32
	v_fma_f32 v35, v83, v27, -v31
	v_mul_f32_e32 v36, v84, v27
	v_mul_f32_e32 v27, v30, v92
	ds_read2_b32 v[31:32], v69 offset0:246 offset1:247
	v_mul_f32_e32 v81, v29, v92
	v_fmac_f32_e32 v36, v83, v28
	v_fma_f32 v57, v29, v91, -v27
	v_fmac_f32_e32 v81, v30, v91
	ds_read2_b64 v[27:30], v64 offset1:81
	s_waitcnt lgkmcnt(1)
	v_mul_f32_e32 v37, v32, v90
	v_fma_f32 v82, v89, v31, -v37
	v_mul_f32_e32 v83, v90, v31
	v_fmac_f32_e32 v83, v32, v89
	s_waitcnt lgkmcnt(0)
	v_add_f32_e32 v31, v27, v33
	v_add_f32_e32 v47, v31, v35
	;; [unrolled: 1-line block ×6, first 2 shown]
	v_fma_f32 v27, -0.5, v32, v27
	v_fma_f32 v28, -0.5, v31, v28
	v_sub_f32_e32 v84, v34, v36
	v_sub_f32_e32 v89, v33, v35
	v_mul_u32_u24_e32 v31, 0x2d0, v59
	v_lshlrev_b32_sdwa v32, v5, v93 dst_sel:DWORD dst_unused:UNUSED_PAD src0_sel:DWORD src1_sel:BYTE_0
	v_mov_b32_e32 v49, v27
	v_mov_b32_e32 v50, v28
	v_add3_u32 v59, 0, v31, v32
	v_fmac_f32_e32 v49, 0x3f5db3d7, v84
	v_fmac_f32_e32 v50, 0xbf5db3d7, v89
	;; [unrolled: 1-line block ×4, first 2 shown]
	ds_read2_b64 v[31:34], v64 offset0:162 offset1:243
	ds_read2_b64 v[35:38], v72 offset0:68 offset1:149
	ds_read2_b64 v[39:42], v65 offset0:102 offset1:183
	ds_read2_b64 v[43:46], v73 offset0:136 offset1:217
	s_waitcnt lgkmcnt(0)
	s_barrier
	ds_write2_b64 v59, v[47:48], v[49:50] offset1:30
	ds_write_b64 v59, v[27:28] offset:480
	v_add_f32_e32 v28, v82, v57
	v_add_f32_e32 v47, v83, v81
	;; [unrolled: 1-line block ×3, first 2 shown]
	v_fma_f32 v29, -0.5, v28, v29
	v_add_f32_e32 v28, v30, v83
	v_sub_f32_e32 v49, v83, v81
	v_fmac_f32_e32 v30, -0.5, v47
	v_sub_f32_e32 v50, v82, v57
	v_mul_u32_u24_e32 v47, 0x2d0, v95
	v_lshlrev_b32_sdwa v48, v5, v96 dst_sel:DWORD dst_unused:UNUSED_PAD src0_sel:DWORD src1_sel:BYTE_0
	v_add_f32_e32 v27, v27, v57
	v_add3_u32 v57, 0, v47, v48
	v_mov_b32_e32 v47, v29
	v_mov_b32_e32 v48, v30
	v_fmac_f32_e32 v29, 0xbf5db3d7, v49
	v_fmac_f32_e32 v30, 0x3f5db3d7, v50
	ds_write_b64 v57, v[29:30] offset:480
	v_add_f32_e32 v30, v77, v85
	v_add_f32_e32 v29, v94, v78
	;; [unrolled: 1-line block ×3, first 2 shown]
	v_fmac_f32_e32 v47, 0x3f5db3d7, v49
	v_fmac_f32_e32 v48, 0xbf5db3d7, v50
	v_fma_f32 v29, -0.5, v29, v31
	v_fma_f32 v30, -0.5, v30, v32
	ds_write2_b64 v57, v[27:28], v[47:48] offset1:30
	v_add_f32_e32 v27, v31, v94
	v_add_f32_e32 v28, v32, v77
	v_sub_f32_e32 v47, v77, v85
	v_sub_f32_e32 v31, v94, v78
	v_add3_u32 v32, 0, v19, v20
	v_mov_b32_e32 v19, v29
	v_mov_b32_e32 v20, v30
	v_add_f32_e32 v27, v27, v78
	v_add_f32_e32 v28, v28, v85
	v_fmac_f32_e32 v19, 0x3f5db3d7, v47
	v_fmac_f32_e32 v20, 0xbf5db3d7, v31
	ds_write2_b64 v32, v[27:28], v[19:20] offset1:30
	v_add_f32_e32 v20, v86, v80
	v_add_f32_e32 v27, v79, v87
	v_fmac_f32_e32 v29, 0xbf5db3d7, v47
	v_fmac_f32_e32 v30, 0x3f5db3d7, v31
	v_add_f32_e32 v19, v33, v86
	v_fma_f32 v33, -0.5, v20, v33
	v_add_f32_e32 v20, v34, v79
	v_fmac_f32_e32 v34, -0.5, v27
	ds_write_b64 v32, v[29:30] offset:480
	v_sub_f32_e32 v29, v79, v87
	v_sub_f32_e32 v30, v86, v80
	v_mov_b32_e32 v27, v33
	v_mov_b32_e32 v28, v34
	v_add_f32_e32 v19, v19, v80
	v_add_f32_e32 v20, v20, v87
	v_fmac_f32_e32 v27, 0x3f5db3d7, v29
	v_fmac_f32_e32 v28, 0xbf5db3d7, v30
	;; [unrolled: 1-line block ×4, first 2 shown]
	ds_write2_b64 v16, v[19:20], v[27:28] offset1:30
	ds_write_b64 v16, v[33:34] offset:480
	v_add_f32_e32 v16, v35, v88
	v_add_f32_e32 v18, v16, v98
	;; [unrolled: 1-line block ×6, first 2 shown]
	v_fma_f32 v27, -0.5, v27, v35
	v_fma_f32 v28, -0.5, v16, v36
	v_lshlrev_b32_e32 v16, 3, v17
	v_sub_f32_e32 v20, v97, v99
	v_sub_f32_e32 v29, v88, v98
	v_add3_u32 v17, 0, v15, v16
	v_mov_b32_e32 v15, v27
	v_mov_b32_e32 v16, v28
	v_fmac_f32_e32 v15, 0x3f5db3d7, v20
	v_fmac_f32_e32 v16, 0xbf5db3d7, v29
	;; [unrolled: 1-line block ×4, first 2 shown]
	ds_write2_b64 v17, v[18:19], v[15:16] offset1:30
	ds_write_b64 v17, v[27:28] offset:480
	v_add_f32_e32 v16, v100, v102
	v_add_f32_e32 v17, v101, v103
	;; [unrolled: 1-line block ×3, first 2 shown]
	v_fma_f32 v37, -0.5, v16, v37
	v_add_f32_e32 v16, v38, v101
	v_fmac_f32_e32 v38, -0.5, v17
	v_sub_f32_e32 v19, v101, v103
	v_sub_f32_e32 v20, v100, v102
	v_mov_b32_e32 v17, v37
	v_mov_b32_e32 v18, v38
	v_add_f32_e32 v15, v15, v102
	v_add_f32_e32 v16, v16, v103
	v_fmac_f32_e32 v17, 0x3f5db3d7, v19
	v_fmac_f32_e32 v18, 0xbf5db3d7, v20
	;; [unrolled: 1-line block ×4, first 2 shown]
	ds_write2_b64 v2, v[15:16], v[17:18] offset1:30
	ds_write_b64 v2, v[37:38] offset:480
	v_add_f32_e32 v2, v39, v104
	v_add_f32_e32 v15, v2, v106
	;; [unrolled: 1-line block ×6, first 2 shown]
	v_fma_f32 v17, -0.5, v17, v39
	v_fma_f32 v18, -0.5, v2, v40
	v_lshlrev_b32_e32 v2, 3, v3
	v_sub_f32_e32 v7, v105, v107
	v_sub_f32_e32 v19, v104, v106
	v_add3_u32 v3, 0, v1, v2
	v_mov_b32_e32 v1, v17
	v_mov_b32_e32 v2, v18
	v_fmac_f32_e32 v1, 0x3f5db3d7, v7
	v_fmac_f32_e32 v2, 0xbf5db3d7, v19
	ds_write2_b64 v3, v[15:16], v[1:2] offset1:30
	v_fmac_f32_e32 v17, 0xbf5db3d7, v7
	v_add_f32_e32 v2, v108, v110
	v_add_f32_e32 v7, v109, v111
	v_fmac_f32_e32 v18, 0x3f5db3d7, v19
	v_add_f32_e32 v1, v41, v108
	v_fma_f32 v41, -0.5, v2, v41
	v_add_f32_e32 v2, v42, v109
	v_fmac_f32_e32 v42, -0.5, v7
	v_mul_u32_u24_e32 v15, 0x2d0, v21
	v_lshlrev_b32_e32 v16, 3, v22
	ds_write_b64 v3, v[17:18] offset:480
	v_sub_f32_e32 v3, v109, v111
	v_sub_f32_e32 v7, v108, v110
	v_add3_u32 v17, 0, v15, v16
	v_mov_b32_e32 v15, v41
	v_mov_b32_e32 v16, v42
	v_add_f32_e32 v1, v1, v110
	v_add_f32_e32 v2, v2, v111
	v_fmac_f32_e32 v15, 0x3f5db3d7, v3
	v_fmac_f32_e32 v16, 0xbf5db3d7, v7
	ds_write2_b64 v17, v[1:2], v[15:16] offset1:30
	v_fmac_f32_e32 v41, 0xbf5db3d7, v3
	v_fmac_f32_e32 v42, 0x3f5db3d7, v7
	v_add_f32_e32 v7, v52, v54
	v_add_f32_e32 v15, v112, v51
	ds_write_b64 v17, v[41:42] offset:480
	v_fma_f32 v15, -0.5, v15, v43
	v_fma_f32 v16, -0.5, v7, v44
	v_mul_u32_u24_e32 v17, 0x2d0, v23
	v_lshlrev_b32_e32 v18, 3, v24
	v_add_f32_e32 v1, v43, v112
	v_add_f32_e32 v2, v44, v52
	v_sub_f32_e32 v3, v52, v54
	v_sub_f32_e32 v7, v112, v51
	v_add3_u32 v19, 0, v17, v18
	v_mov_b32_e32 v17, v15
	v_mov_b32_e32 v18, v16
	v_add_f32_e32 v1, v1, v51
	v_add_f32_e32 v2, v2, v54
	v_fmac_f32_e32 v17, 0x3f5db3d7, v3
	v_fmac_f32_e32 v18, 0xbf5db3d7, v7
	ds_write2_b64 v19, v[1:2], v[17:18] offset1:30
	v_fmac_f32_e32 v15, 0xbf5db3d7, v3
	v_fmac_f32_e32 v16, 0x3f5db3d7, v7
	v_add_f32_e32 v2, v53, v55
	v_add_f32_e32 v7, v56, v58
	ds_write_b64 v19, v[15:16] offset:480
	v_add_f32_e32 v1, v45, v53
	v_fma_f32 v45, -0.5, v2, v45
	v_add_f32_e32 v2, v46, v56
	v_fmac_f32_e32 v46, -0.5, v7
	v_mul_u32_u24_e32 v15, 0x2d0, v25
	v_lshlrev_b32_e32 v16, 3, v26
	v_sub_f32_e32 v3, v56, v58
	v_sub_f32_e32 v7, v53, v55
	v_add3_u32 v17, 0, v15, v16
	v_mov_b32_e32 v15, v45
	v_mov_b32_e32 v16, v46
	v_add_f32_e32 v1, v1, v55
	v_add_f32_e32 v2, v2, v58
	v_fmac_f32_e32 v15, 0x3f5db3d7, v3
	v_fmac_f32_e32 v16, 0xbf5db3d7, v7
	ds_write2_b64 v17, v[1:2], v[15:16] offset1:30
	v_mul_lo_u16_sdwa v1, v4, s5 dst_sel:DWORD dst_unused:UNUSED_PAD src0_sel:BYTE_0 src1_sel:DWORD
	v_lshrrev_b16_e32 v23, 14, v1
	v_mul_lo_u16_e32 v1, 0x5a, v23
	v_sub_u16_e32 v24, v4, v1
	v_fmac_f32_e32 v45, 0xbf5db3d7, v3
	v_fmac_f32_e32 v46, 0x3f5db3d7, v7
	v_lshlrev_b32_sdwa v0, v0, v24 dst_sel:DWORD dst_unused:UNUSED_PAD src0_sel:DWORD src1_sel:BYTE_0
	s_movk_i32 s5, 0x2d83
	ds_write_b64 v17, v[45:46] offset:480
	s_waitcnt lgkmcnt(0)
	s_barrier
	global_load_dwordx4 v[30:33], v0, s[8:9] offset:640
	v_mul_u32_u24_sdwa v0, v11, s5 dst_sel:DWORD dst_unused:UNUSED_PAD src0_sel:WORD_0 src1_sel:DWORD
	v_lshrrev_b32_e32 v20, 20, v0
	v_mul_lo_u16_e32 v0, 0x5a, v20
	v_sub_u16_e32 v22, v11, v0
	v_lshlrev_b32_e32 v0, 4, v22
	global_load_dwordx4 v[34:37], v0, s[8:9] offset:640
	v_mul_u32_u24_sdwa v0, v9, s5 dst_sel:DWORD dst_unused:UNUSED_PAD src0_sel:WORD_0 src1_sel:DWORD
	v_lshrrev_b32_e32 v19, 20, v0
	v_mul_lo_u16_e32 v0, 0x5a, v19
	v_sub_u16_e32 v21, v9, v0
	v_lshlrev_b32_e32 v0, 4, v21
	;; [unrolled: 6-line block ×7, first 2 shown]
	global_load_dwordx4 v[85:88], v0, s[8:9] offset:640
	v_lshlrev_b32_e32 v0, 1, v60
	v_mov_b32_e32 v1, 0
	v_lshlrev_b64 v[2:3], 3, v[0:1]
	v_mov_b32_e32 v15, s9
	v_add_co_u32_e32 v2, vcc, s8, v2
	v_addc_co_u32_e32 v3, vcc, v15, v3, vcc
	v_add_u32_e32 v58, -9, v60
	v_cmp_gt_u32_e32 vcc, 9, v60
	v_cndmask_b32_e32 v98, v58, v6, vcc
	v_lshlrev_b32_e32 v58, 1, v98
	v_mov_b32_e32 v59, v1
	v_lshlrev_b64 v[58:59], 3, v[58:59]
	global_load_dwordx4 v[89:92], v[2:3], off offset:640
	v_add_co_u32_e32 v58, vcc, s8, v58
	v_addc_co_u32_e32 v59, vcc, v15, v59, vcc
	global_load_dwordx4 v[93:96], v[58:59], off offset:640
	ds_read2_b64 v[50:53], v68 offset0:76 offset1:157
	ds_read2_b64 v[77:80], v71 offset0:118 offset1:199
	v_cmp_lt_u32_e32 vcc, 8, v60
	v_lshlrev_b32_sdwa v5, v5, v24 dst_sel:DWORD dst_unused:UNUSED_PAD src0_sel:DWORD src1_sel:BYTE_0
	v_mul_u32_u24_e32 v23, 0x870, v23
	v_add3_u32 v5, 0, v23, v5
	v_mul_u32_u24_e32 v20, 0x870, v20
	v_lshlrev_b32_e32 v22, 3, v22
	v_add3_u32 v20, 0, v20, v22
	v_mul_u32_u24_e32 v19, 0x870, v19
	v_mul_u32_u24_e32 v16, 0x870, v16
	v_lshlrev_b32_e32 v18, 3, v18
	v_add3_u32 v16, 0, v16, v18
	v_mul_u32_u24_e32 v7, 0x870, v7
	v_lshlrev_b32_e32 v4, 1, v4
	s_movk_i32 s5, 0x795d
	v_lshlrev_b32_e32 v6, 1, v6
	s_waitcnt vmcnt(9) lgkmcnt(1)
	v_mul_f32_e32 v97, v51, v31
	v_mul_f32_e32 v59, v50, v31
	v_fma_f32 v58, v50, v30, -v97
	v_fmac_f32_e32 v59, v51, v30
	s_waitcnt lgkmcnt(0)
	v_mul_f32_e32 v30, v78, v33
	v_fma_f32 v97, v77, v32, -v30
	v_mul_f32_e32 v77, v77, v33
	s_waitcnt vmcnt(8)
	v_mul_f32_e32 v30, v53, v35
	v_mul_f32_e32 v99, v52, v35
	v_fmac_f32_e32 v77, v78, v32
	v_fma_f32 v78, v52, v34, -v30
	v_fmac_f32_e32 v99, v53, v34
	v_mul_f32_e32 v34, v80, v37
	ds_read2_b64 v[30:33], v75 offset0:110 offset1:191
	v_fma_f32 v100, v79, v36, -v34
	v_mul_f32_e32 v79, v79, v37
	v_fmac_f32_e32 v79, v80, v36
	ds_read2_b64 v[34:37], v67 offset0:152 offset1:233
	s_waitcnt vmcnt(7) lgkmcnt(1)
	v_mul_f32_e32 v50, v31, v39
	v_fma_f32 v80, v30, v38, -v50
	v_mul_f32_e32 v101, v30, v39
	s_waitcnt vmcnt(6)
	v_mul_f32_e32 v105, v32, v43
	s_waitcnt lgkmcnt(0)
	v_mul_f32_e32 v30, v35, v41
	v_fma_f32 v102, v34, v40, -v30
	v_mul_f32_e32 v30, v33, v43
	v_fmac_f32_e32 v101, v31, v38
	v_mul_f32_e32 v103, v34, v41
	v_fma_f32 v104, v32, v42, -v30
	v_fmac_f32_e32 v105, v33, v42
	v_mul_f32_e32 v34, v37, v45
	ds_read2_b64 v[30:33], v66 offset0:16 offset1:97
	v_mul_f32_e32 v107, v36, v45
	v_fmac_f32_e32 v103, v35, v40
	v_fma_f32 v106, v36, v44, -v34
	v_fmac_f32_e32 v107, v37, v44
	ds_read2_b64 v[34:37], v74 offset0:58 offset1:139
	s_waitcnt vmcnt(5) lgkmcnt(1)
	v_mul_f32_e32 v38, v31, v47
	v_fma_f32 v108, v30, v46, -v38
	v_mul_f32_e32 v109, v30, v47
	v_fmac_f32_e32 v109, v31, v46
	s_waitcnt lgkmcnt(0)
	v_mul_f32_e32 v30, v35, v49
	v_fma_f32 v110, v34, v48, -v30
	s_waitcnt vmcnt(4)
	v_mul_f32_e32 v30, v33, v55
	v_mul_f32_e32 v55, v32, v55
	v_mul_f32_e32 v111, v34, v49
	v_fma_f32 v112, v32, v54, -v30
	v_fmac_f32_e32 v55, v33, v54
	v_mul_f32_e32 v34, v37, v57
	ds_read2_b64 v[30:33], v61 offset0:50 offset1:131
	v_mul_f32_e32 v57, v36, v57
	v_fmac_f32_e32 v111, v35, v48
	v_fma_f32 v54, v36, v56, -v34
	v_fmac_f32_e32 v57, v37, v56
	ds_read2_b64 v[34:37], v70 offset0:92 offset1:173
	s_waitcnt vmcnt(3) lgkmcnt(1)
	v_mul_f32_e32 v38, v31, v82
	v_fma_f32 v56, v30, v81, -v38
	v_mul_f32_e32 v82, v30, v82
	v_fmac_f32_e32 v82, v31, v81
	s_waitcnt lgkmcnt(0)
	v_mul_f32_e32 v30, v35, v84
	v_fma_f32 v81, v34, v83, -v30
	v_mul_f32_e32 v84, v34, v84
	s_waitcnt vmcnt(2)
	v_mul_f32_e32 v30, v33, v86
	v_fmac_f32_e32 v84, v35, v83
	v_fma_f32 v83, v32, v85, -v30
	v_mul_f32_e32 v86, v32, v86
	v_mul_f32_e32 v30, v37, v88
	ds_read_b64 v[34:35], v64 offset:6480
	v_fmac_f32_e32 v86, v33, v85
	v_fma_f32 v85, v36, v87, -v30
	ds_read2_b64 v[30:33], v76 offset0:84 offset1:165
	v_mul_f32_e32 v88, v36, v88
	s_waitcnt vmcnt(1) lgkmcnt(1)
	v_mul_f32_e32 v36, v90, v35
	v_fmac_f32_e32 v88, v37, v87
	v_fma_f32 v36, v89, v34, -v36
	v_mul_f32_e32 v37, v90, v34
	s_waitcnt lgkmcnt(0)
	v_mul_f32_e32 v34, v92, v31
	v_fmac_f32_e32 v37, v89, v35
	v_fma_f32 v38, v91, v30, -v34
	v_mul_f32_e32 v39, v92, v30
	s_waitcnt vmcnt(0)
	v_mul_f32_e32 v30, v33, v96
	ds_read2_b32 v[34:35], v69 offset0:246 offset1:247
	v_mul_f32_e32 v89, v32, v96
	v_fmac_f32_e32 v39, v91, v31
	v_fma_f32 v87, v32, v95, -v30
	v_fmac_f32_e32 v89, v33, v95
	ds_read2_b64 v[30:33], v64 offset1:81
	s_waitcnt lgkmcnt(1)
	v_mul_f32_e32 v40, v35, v94
	v_fma_f32 v90, v93, v34, -v40
	v_mul_f32_e32 v91, v94, v34
	v_fmac_f32_e32 v91, v35, v93
	s_waitcnt lgkmcnt(0)
	v_add_f32_e32 v34, v30, v36
	v_add_f32_e32 v50, v34, v38
	;; [unrolled: 1-line block ×6, first 2 shown]
	v_fma_f32 v30, -0.5, v35, v30
	v_fma_f32 v31, -0.5, v34, v31
	v_sub_f32_e32 v92, v37, v39
	v_sub_f32_e32 v93, v36, v38
	v_mov_b32_e32 v52, v30
	v_mov_b32_e32 v53, v31
	v_fmac_f32_e32 v52, 0x3f5db3d7, v92
	v_fmac_f32_e32 v53, 0xbf5db3d7, v93
	;; [unrolled: 1-line block ×4, first 2 shown]
	ds_read2_b64 v[34:37], v64 offset0:162 offset1:243
	ds_read2_b64 v[38:41], v72 offset0:68 offset1:149
	;; [unrolled: 1-line block ×4, first 2 shown]
	s_waitcnt lgkmcnt(0)
	s_barrier
	ds_write2_b64 v64, v[50:51], v[52:53] offset1:90
	ds_write_b64 v64, v[30:31] offset:1440
	v_add_f32_e32 v31, v90, v87
	v_add_f32_e32 v50, v91, v89
	;; [unrolled: 1-line block ×3, first 2 shown]
	v_fma_f32 v32, -0.5, v31, v32
	v_add_f32_e32 v31, v33, v91
	v_fmac_f32_e32 v33, -0.5, v50
	v_mov_b32_e32 v50, 0x870
	v_sub_f32_e32 v52, v91, v89
	v_sub_f32_e32 v53, v90, v87
	v_cndmask_b32_e32 v50, 0, v50, vcc
	v_lshlrev_b32_e32 v51, 3, v98
	v_add_f32_e32 v30, v30, v87
	v_add3_u32 v87, 0, v50, v51
	v_mov_b32_e32 v50, v32
	v_mov_b32_e32 v51, v33
	v_fmac_f32_e32 v32, 0xbf5db3d7, v52
	v_fmac_f32_e32 v33, 0x3f5db3d7, v53
	ds_write_b64 v87, v[32:33] offset:1440
	v_add_f32_e32 v33, v59, v77
	v_add_f32_e32 v32, v58, v97
	;; [unrolled: 1-line block ×3, first 2 shown]
	v_fmac_f32_e32 v50, 0x3f5db3d7, v52
	v_fmac_f32_e32 v51, 0xbf5db3d7, v53
	v_fma_f32 v32, -0.5, v32, v34
	v_fma_f32 v33, -0.5, v33, v35
	ds_write2_b64 v87, v[30:31], v[50:51] offset1:90
	v_add_f32_e32 v30, v34, v58
	v_add_f32_e32 v31, v35, v59
	v_sub_f32_e32 v50, v59, v77
	v_sub_f32_e32 v34, v58, v97
	v_mov_b32_e32 v23, v32
	v_mov_b32_e32 v24, v33
	v_add_f32_e32 v30, v30, v97
	v_add_f32_e32 v31, v31, v77
	v_fmac_f32_e32 v23, 0x3f5db3d7, v50
	v_fmac_f32_e32 v24, 0xbf5db3d7, v34
	;; [unrolled: 1-line block ×4, first 2 shown]
	ds_write2_b64 v5, v[30:31], v[23:24] offset1:90
	ds_write_b64 v5, v[32:33] offset:1440
	v_add_f32_e32 v5, v36, v78
	v_add_f32_e32 v23, v78, v100
	;; [unrolled: 1-line block ×3, first 2 shown]
	v_fma_f32 v36, -0.5, v23, v36
	v_add_f32_e32 v23, v5, v100
	v_add_f32_e32 v5, v37, v99
	v_fmac_f32_e32 v37, -0.5, v30
	v_add_f32_e32 v24, v5, v79
	v_sub_f32_e32 v5, v99, v79
	v_sub_f32_e32 v32, v78, v100
	v_mov_b32_e32 v30, v36
	v_mov_b32_e32 v31, v37
	v_fmac_f32_e32 v30, 0x3f5db3d7, v5
	v_fmac_f32_e32 v31, 0xbf5db3d7, v32
	;; [unrolled: 1-line block ×4, first 2 shown]
	ds_write2_b64 v20, v[23:24], v[30:31] offset1:90
	ds_write_b64 v20, v[36:37] offset:1440
	v_add_f32_e32 v5, v38, v80
	v_add_f32_e32 v20, v101, v103
	;; [unrolled: 1-line block ×5, first 2 shown]
	v_fma_f32 v30, -0.5, v24, v38
	v_fma_f32 v31, -0.5, v20, v39
	v_lshlrev_b32_e32 v20, 3, v21
	v_add_f32_e32 v23, v5, v103
	v_sub_f32_e32 v5, v101, v103
	v_sub_f32_e32 v24, v80, v102
	v_add3_u32 v21, 0, v19, v20
	v_mov_b32_e32 v19, v30
	v_mov_b32_e32 v20, v31
	v_fmac_f32_e32 v19, 0x3f5db3d7, v5
	v_fmac_f32_e32 v20, 0xbf5db3d7, v24
	;; [unrolled: 1-line block ×4, first 2 shown]
	ds_write2_b64 v21, v[22:23], v[19:20] offset1:90
	ds_write_b64 v21, v[30:31] offset:1440
	v_add_f32_e32 v5, v40, v104
	v_add_f32_e32 v19, v104, v106
	;; [unrolled: 1-line block ×3, first 2 shown]
	v_fma_f32 v40, -0.5, v19, v40
	v_add_f32_e32 v19, v5, v106
	v_add_f32_e32 v5, v41, v105
	v_fmac_f32_e32 v41, -0.5, v21
	v_add_f32_e32 v20, v5, v107
	v_sub_f32_e32 v5, v105, v107
	v_sub_f32_e32 v23, v104, v106
	v_mov_b32_e32 v21, v40
	v_mov_b32_e32 v22, v41
	v_fmac_f32_e32 v21, 0x3f5db3d7, v5
	v_fmac_f32_e32 v22, 0xbf5db3d7, v23
	;; [unrolled: 1-line block ×4, first 2 shown]
	ds_write2_b64 v16, v[19:20], v[21:22] offset1:90
	ds_write_b64 v16, v[40:41] offset:1440
	v_add_f32_e32 v5, v42, v108
	v_add_f32_e32 v16, v109, v111
	;; [unrolled: 1-line block ×5, first 2 shown]
	v_fma_f32 v20, -0.5, v20, v42
	v_fma_f32 v21, -0.5, v16, v43
	v_lshlrev_b32_e32 v16, 3, v17
	v_add_f32_e32 v19, v5, v111
	v_sub_f32_e32 v5, v109, v111
	v_sub_f32_e32 v22, v108, v110
	v_add3_u32 v7, 0, v7, v16
	v_mov_b32_e32 v16, v20
	v_mov_b32_e32 v17, v21
	v_fmac_f32_e32 v16, 0x3f5db3d7, v5
	v_fmac_f32_e32 v17, 0xbf5db3d7, v22
	;; [unrolled: 1-line block ×4, first 2 shown]
	ds_write2_b64 v7, v[18:19], v[16:17] offset1:90
	ds_write_b64 v7, v[20:21] offset:1440
	v_add_f32_e32 v7, v112, v54
	v_add_f32_e32 v5, v44, v112
	v_fma_f32 v44, -0.5, v7, v44
	v_add_f32_e32 v7, v55, v57
	v_add_f32_e32 v16, v5, v54
	;; [unrolled: 1-line block ×3, first 2 shown]
	v_fmac_f32_e32 v45, -0.5, v7
	v_mul_u32_u24_e32 v18, 0x870, v25
	v_lshlrev_b32_e32 v19, 3, v26
	v_add_f32_e32 v17, v5, v57
	v_sub_f32_e32 v5, v55, v57
	v_sub_f32_e32 v7, v112, v54
	v_add3_u32 v20, 0, v18, v19
	v_mov_b32_e32 v18, v44
	v_mov_b32_e32 v19, v45
	v_fmac_f32_e32 v18, 0x3f5db3d7, v5
	v_fmac_f32_e32 v19, 0xbf5db3d7, v7
	ds_write2_b64 v20, v[16:17], v[18:19] offset1:90
	v_fmac_f32_e32 v44, 0xbf5db3d7, v5
	v_fmac_f32_e32 v45, 0x3f5db3d7, v7
	v_add_f32_e32 v5, v46, v56
	v_add_f32_e32 v7, v82, v84
	;; [unrolled: 1-line block ×3, first 2 shown]
	ds_write_b64 v20, v[44:45] offset:1440
	v_add_f32_e32 v16, v5, v81
	v_add_f32_e32 v5, v47, v82
	v_fma_f32 v18, -0.5, v18, v46
	v_fma_f32 v19, -0.5, v7, v47
	v_mul_u32_u24_e32 v20, 0x870, v27
	v_lshlrev_b32_e32 v21, 3, v28
	v_add_f32_e32 v17, v5, v84
	v_sub_f32_e32 v5, v82, v84
	v_sub_f32_e32 v7, v56, v81
	v_add3_u32 v22, 0, v20, v21
	v_mov_b32_e32 v20, v18
	v_mov_b32_e32 v21, v19
	v_fmac_f32_e32 v20, 0x3f5db3d7, v5
	v_fmac_f32_e32 v21, 0xbf5db3d7, v7
	;; [unrolled: 1-line block ×4, first 2 shown]
	v_add_f32_e32 v5, v48, v83
	v_add_f32_e32 v7, v83, v85
	ds_write2_b64 v22, v[16:17], v[20:21] offset1:90
	v_fma_f32 v48, -0.5, v7, v48
	v_add_f32_e32 v16, v5, v85
	v_add_f32_e32 v5, v49, v86
	ds_write_b64 v22, v[18:19] offset:1440
	v_add_f32_e32 v17, v5, v88
	v_sub_f32_e32 v5, v86, v88
	v_mov_b32_e32 v18, v48
	v_fmac_f32_e32 v18, 0x3f5db3d7, v5
	v_fmac_f32_e32 v48, 0xbf5db3d7, v5
	v_mov_b32_e32 v5, v1
	v_add_f32_e32 v7, v86, v88
	v_lshlrev_b64 v[4:5], 3, v[4:5]
	v_fmac_f32_e32 v49, -0.5, v7
	v_sub_f32_e32 v7, v83, v85
	v_mov_b32_e32 v19, v49
	v_lshl_add_u32 v20, v29, 3, 0
	v_add_co_u32_e32 v4, vcc, s8, v4
	v_fmac_f32_e32 v19, 0xbf5db3d7, v7
	v_add_u32_e32 v21, 0x4000, v20
	v_fmac_f32_e32 v49, 0x3f5db3d7, v7
	v_addc_co_u32_e32 v5, vcc, v15, v5, vcc
	ds_write2_b64 v21, v[16:17], v[18:19] offset0:112 offset1:202
	ds_write_b64 v20, v[48:49] offset:18720
	s_waitcnt lgkmcnt(0)
	s_barrier
	global_load_dwordx4 v[21:24], v[4:5], off offset:2080
	v_subrev_u32_e32 v7, 27, v60
	v_cmp_gt_u32_e32 vcc, 27, v60
	v_cndmask_b32_e32 v16, v7, v11, vcc
	v_lshlrev_b32_e32 v17, 1, v16
	v_mov_b32_e32 v18, v1
	v_lshlrev_b64 v[17:18], 3, v[17:18]
	v_add_u32_e32 v106, 0x400, v64
	v_add_co_u32_e32 v17, vcc, s8, v17
	v_addc_co_u32_e32 v18, vcc, v15, v18, vcc
	global_load_dwordx4 v[25:28], v[17:18], off offset:2080
	v_add_u32_e32 v17, 0x6c, v0
	v_mov_b32_e32 v18, v1
	v_lshlrev_b64 v[17:18], 3, v[17:18]
	v_add_u32_e32 v0, 0x10e, v0
	v_add_co_u32_e32 v17, vcc, s8, v17
	v_addc_co_u32_e32 v18, vcc, v15, v18, vcc
	global_load_dwordx4 v[29:32], v[17:18], off offset:2080
	v_lshlrev_b64 v[17:18], 3, v[0:1]
	v_mul_u32_u24_sdwa v0, v8, s5 dst_sel:DWORD dst_unused:UNUSED_PAD src0_sel:WORD_0 src1_sel:DWORD
	v_add_co_u32_e32 v17, vcc, s8, v17
	v_addc_co_u32_e32 v18, vcc, v15, v18, vcc
	global_load_dwordx4 v[33:36], v[17:18], off offset:2080
	v_lshrrev_b32_e32 v17, 23, v0
	v_mul_lo_u16_e32 v0, 0x10e, v17
	v_sub_u16_e32 v18, v8, v0
	v_lshlrev_b32_e32 v0, 4, v18
	global_load_dwordx4 v[37:40], v0, s[8:9] offset:2080
	v_mul_u32_u24_sdwa v0, v13, s5 dst_sel:DWORD dst_unused:UNUSED_PAD src0_sel:WORD_0 src1_sel:DWORD
	v_lshrrev_b32_e32 v0, 23, v0
	v_mul_lo_u16_e32 v0, 0x10e, v0
	v_sub_u16_e32 v0, v13, v0
	v_lshlrev_b32_e32 v7, 4, v0
	global_load_dwordx4 v[41:44], v7, s[8:9] offset:2080
	v_mul_u32_u24_sdwa v7, v12, s5 dst_sel:DWORD dst_unused:UNUSED_PAD src0_sel:WORD_0 src1_sel:DWORD
	;; [unrolled: 6-line block ×3, first 2 shown]
	v_lshrrev_b32_e32 v7, 23, v7
	v_mul_lo_u16_e32 v7, 0x10e, v7
	v_sub_u16_e32 v20, v14, v7
	v_lshlrev_b32_e32 v7, 4, v20
	global_load_dwordx4 v[49:52], v7, s[8:9] offset:2080
	ds_read2_b64 v[53:56], v68 offset0:76 offset1:157
	ds_read2_b64 v[77:80], v71 offset0:118 offset1:199
	global_load_dwordx4 v[81:84], v[2:3], off offset:2080
	v_lshlrev_b32_e32 v16, 3, v16
	v_lshl_add_u32 v0, v0, 3, 0
	s_waitcnt vmcnt(8) lgkmcnt(1)
	v_mul_f32_e32 v7, v54, v22
	v_fma_f32 v57, v53, v21, -v7
	v_mov_b32_e32 v7, v1
	v_lshlrev_b64 v[6:7], 3, v[6:7]
	v_mul_f32_e32 v53, v53, v22
	v_add_co_u32_e32 v6, vcc, s8, v6
	v_addc_co_u32_e32 v7, vcc, v15, v7, vcc
	global_load_dwordx4 v[85:88], v[6:7], off offset:2080
	v_fmac_f32_e32 v53, v54, v21
	s_waitcnt lgkmcnt(0)
	v_mul_f32_e32 v21, v78, v24
	v_fma_f32 v54, v77, v23, -v21
	s_waitcnt vmcnt(8)
	v_mul_f32_e32 v21, v56, v26
	v_mul_f32_e32 v58, v77, v24
	v_fma_f32 v59, v55, v25, -v21
	v_mul_f32_e32 v55, v55, v26
	v_fmac_f32_e32 v58, v78, v23
	v_fmac_f32_e32 v55, v56, v25
	v_mul_f32_e32 v25, v80, v28
	ds_read2_b64 v[21:24], v75 offset0:110 offset1:191
	v_mul_f32_e32 v77, v79, v28
	v_fma_f32 v56, v79, v27, -v25
	v_fmac_f32_e32 v77, v80, v27
	ds_read2_b64 v[25:28], v67 offset0:152 offset1:233
	s_waitcnt vmcnt(7) lgkmcnt(1)
	v_mul_f32_e32 v78, v22, v30
	v_fma_f32 v78, v21, v29, -v78
	v_mul_f32_e32 v79, v21, v30
	s_waitcnt vmcnt(6)
	v_mul_f32_e32 v91, v23, v34
	s_waitcnt lgkmcnt(0)
	v_mul_f32_e32 v21, v26, v32
	v_fma_f32 v80, v25, v31, -v21
	v_mul_f32_e32 v21, v24, v34
	v_fmac_f32_e32 v79, v22, v29
	v_mul_f32_e32 v89, v25, v32
	v_fma_f32 v90, v23, v33, -v21
	v_fmac_f32_e32 v91, v24, v33
	v_mul_f32_e32 v25, v28, v36
	ds_read2_b64 v[21:24], v66 offset0:16 offset1:97
	v_mul_f32_e32 v93, v27, v36
	v_fmac_f32_e32 v89, v26, v31
	v_fma_f32 v92, v27, v35, -v25
	v_fmac_f32_e32 v93, v28, v35
	ds_read2_b64 v[25:28], v74 offset0:58 offset1:139
	s_waitcnt vmcnt(5) lgkmcnt(1)
	v_mul_f32_e32 v29, v22, v38
	v_fma_f32 v94, v21, v37, -v29
	v_mul_f32_e32 v95, v21, v38
	s_waitcnt vmcnt(4)
	v_mul_f32_e32 v99, v23, v42
	s_waitcnt lgkmcnt(0)
	v_mul_f32_e32 v21, v26, v40
	v_fma_f32 v96, v25, v39, -v21
	v_mul_f32_e32 v21, v24, v42
	v_fmac_f32_e32 v95, v22, v37
	v_mul_f32_e32 v97, v25, v40
	v_fma_f32 v98, v23, v41, -v21
	v_fmac_f32_e32 v99, v24, v41
	v_mul_f32_e32 v25, v28, v44
	ds_read2_b64 v[21:24], v61 offset0:50 offset1:131
	v_mul_f32_e32 v101, v27, v44
	v_fmac_f32_e32 v97, v26, v39
	v_fma_f32 v100, v27, v43, -v25
	v_fmac_f32_e32 v101, v28, v43
	ds_read2_b64 v[25:28], v70 offset0:92 offset1:173
	s_waitcnt vmcnt(3) lgkmcnt(1)
	v_mul_f32_e32 v29, v22, v46
	v_fma_f32 v102, v21, v45, -v29
	v_mul_f32_e32 v103, v21, v46
	v_fmac_f32_e32 v103, v22, v45
	s_waitcnt lgkmcnt(0)
	v_mul_f32_e32 v21, v26, v48
	v_fma_f32 v104, v25, v47, -v21
	v_mul_f32_e32 v48, v25, v48
	s_waitcnt vmcnt(2)
	v_mul_f32_e32 v21, v24, v50
	v_fmac_f32_e32 v48, v26, v47
	v_fma_f32 v47, v23, v49, -v21
	v_mul_f32_e32 v50, v23, v50
	v_mul_f32_e32 v21, v28, v52
	ds_read_b64 v[25:26], v64 offset:6480
	v_fmac_f32_e32 v50, v24, v49
	v_fma_f32 v49, v27, v51, -v21
	ds_read2_b64 v[21:24], v76 offset0:84 offset1:165
	v_mul_f32_e32 v52, v27, v52
	s_waitcnt vmcnt(1) lgkmcnt(1)
	v_mul_f32_e32 v27, v82, v26
	v_fmac_f32_e32 v52, v28, v51
	v_fma_f32 v51, v81, v25, -v27
	v_mul_f32_e32 v82, v82, v25
	s_waitcnt lgkmcnt(0)
	v_mul_f32_e32 v25, v84, v22
	v_fmac_f32_e32 v82, v81, v26
	v_fma_f32 v81, v83, v21, -v25
	ds_read2_b32 v[25:26], v69 offset0:246 offset1:247
	v_mul_f32_e32 v84, v84, v21
	v_fmac_f32_e32 v84, v83, v22
	v_add_f32_e32 v29, v51, v81
	s_waitcnt vmcnt(0)
	v_mul_f32_e32 v21, v24, v88
	v_fma_f32 v83, v23, v87, -v21
	v_mul_f32_e32 v88, v23, v88
	s_waitcnt lgkmcnt(0)
	v_mul_f32_e32 v21, v26, v86
	v_fmac_f32_e32 v88, v24, v87
	v_fma_f32 v87, v85, v25, -v21
	ds_read2_b64 v[21:24], v64 offset1:81
	v_mul_f32_e32 v86, v86, v25
	v_fmac_f32_e32 v86, v26, v85
	ds_read2_b64 v[25:28], v64 offset0:162 offset1:243
	v_sub_f32_e32 v85, v82, v84
	s_waitcnt lgkmcnt(1)
	v_fma_f32 v41, -0.5, v29, v21
	v_add_f32_e32 v29, v82, v84
	v_fma_f32 v42, -0.5, v29, v22
	s_waitcnt lgkmcnt(0)
	v_add_f32_e32 v29, v25, v57
	v_add_f32_e32 v43, v29, v54
	;; [unrolled: 1-line block ×3, first 2 shown]
	v_mov_b32_e32 v45, v41
	v_mov_b32_e32 v46, v42
	v_sub_f32_e32 v105, v51, v81
	v_add_f32_e32 v44, v29, v58
	v_fmac_f32_e32 v45, 0x3f5db3d7, v85
	v_fmac_f32_e32 v46, 0xbf5db3d7, v105
	ds_read2_b64 v[29:32], v72 offset0:68 offset1:149
	ds_read2_b64 v[33:36], v65 offset0:102 offset1:183
	;; [unrolled: 1-line block ×3, first 2 shown]
	s_waitcnt lgkmcnt(0)
	s_barrier
	ds_write2_b64 v106, v[43:44], v[45:46] offset0:34 offset1:142
	v_add_f32_e32 v43, v87, v83
	v_add_f32_e32 v45, v23, v87
	v_fma_f32 v23, -0.5, v43, v23
	v_add_f32_e32 v43, v86, v88
	v_fmac_f32_e32 v41, 0xbf5db3d7, v85
	v_add_f32_e32 v46, v24, v86
	v_fmac_f32_e32 v24, -0.5, v43
	v_sub_f32_e32 v85, v86, v88
	v_sub_f32_e32 v86, v87, v83
	v_fmac_f32_e32 v42, 0x3f5db3d7, v105
	v_mov_b32_e32 v43, v23
	v_fmac_f32_e32 v23, 0xbf5db3d7, v85
	v_mov_b32_e32 v44, v24
	v_fmac_f32_e32 v24, 0x3f5db3d7, v86
	v_add_f32_e32 v21, v21, v51
	v_add_f32_e32 v22, v22, v82
	ds_write2_b64 v73, v[41:42], v[23:24] offset0:28 offset1:109
	v_add_f32_e32 v21, v21, v81
	v_add_f32_e32 v22, v22, v84
	;; [unrolled: 1-line block ×4, first 2 shown]
	ds_write2_b64 v64, v[21:22], v[23:24] offset1:81
	v_add_f32_e32 v22, v53, v58
	v_add_f32_e32 v21, v57, v54
	v_sub_f32_e32 v41, v53, v58
	v_fma_f32 v21, -0.5, v21, v25
	v_fma_f32 v22, -0.5, v22, v26
	v_sub_f32_e32 v25, v57, v54
	v_mov_b32_e32 v23, v21
	v_mov_b32_e32 v24, v22
	v_fmac_f32_e32 v21, 0xbf5db3d7, v41
	v_fmac_f32_e32 v22, 0x3f5db3d7, v25
	v_fmac_f32_e32 v43, 0x3f5db3d7, v85
	v_fmac_f32_e32 v44, 0xbf5db3d7, v86
	v_fmac_f32_e32 v23, 0x3f5db3d7, v41
	v_fmac_f32_e32 v24, 0xbf5db3d7, v25
	ds_write_b64 v64, v[21:22] offset:5616
	v_add_f32_e32 v21, v59, v56
	ds_write2_b64 v72, v[43:44], v[23:24] offset0:95 offset1:176
	v_add_f32_e32 v23, v27, v59
	v_fma_f32 v27, -0.5, v21, v27
	v_add_f32_e32 v21, v55, v77
	v_add_f32_e32 v24, v28, v55
	v_fmac_f32_e32 v28, -0.5, v21
	v_mov_b32_e32 v21, 0x1950
	v_cmp_lt_u32_e32 vcc, 26, v60
	v_cndmask_b32_e32 v21, 0, v21, vcc
	v_add3_u32 v16, 0, v21, v16
	v_sub_f32_e32 v25, v55, v77
	v_mov_b32_e32 v21, v27
	v_sub_f32_e32 v26, v59, v56
	v_mov_b32_e32 v22, v28
	v_fmac_f32_e32 v27, 0xbf5db3d7, v25
	v_fmac_f32_e32 v28, 0x3f5db3d7, v26
	v_add_f32_e32 v23, v23, v56
	v_add_f32_e32 v24, v24, v77
	v_fmac_f32_e32 v21, 0x3f5db3d7, v25
	v_fmac_f32_e32 v22, 0xbf5db3d7, v26
	ds_write_b64 v16, v[27:28] offset:4320
	ds_write_b64 v16, v[23:24]
	ds_write_b64 v16, v[21:22] offset:2160
	v_add_f32_e32 v16, v78, v80
	v_fma_f32 v21, -0.5, v16, v29
	v_add_f32_e32 v16, v79, v89
	v_add_f32_e32 v23, v90, v92
	v_fma_f32 v22, -0.5, v16, v30
	v_add_f32_e32 v16, v31, v90
	v_fma_f32 v31, -0.5, v23, v31
	v_add_f32_e32 v23, v91, v93
	v_add_f32_e32 v28, v32, v91
	v_fmac_f32_e32 v32, -0.5, v23
	v_sub_f32_e32 v41, v79, v89
	v_sub_f32_e32 v42, v78, v80
	;; [unrolled: 1-line block ×4, first 2 shown]
	v_mov_b32_e32 v23, v21
	v_fmac_f32_e32 v21, 0xbf5db3d7, v41
	v_mov_b32_e32 v24, v22
	v_fmac_f32_e32 v22, 0x3f5db3d7, v42
	;; [unrolled: 2-line block ×4, first 2 shown]
	ds_write2_b64 v66, v[21:22], v[31:32] offset0:124 offset1:205
	v_add_f32_e32 v21, v29, v78
	v_add_f32_e32 v22, v30, v79
	;; [unrolled: 1-line block ×7, first 2 shown]
	ds_write2_b64 v69, v[21:22], v[27:28] offset0:96 offset1:177
	v_add_f32_e32 v21, v16, v96
	v_add_f32_e32 v16, v34, v95
	;; [unrolled: 1-line block ×3, first 2 shown]
	v_mul_u32_u24_e32 v16, 0x1950, v17
	v_lshlrev_b32_e32 v17, 3, v18
	v_fmac_f32_e32 v23, 0x3f5db3d7, v41
	v_fmac_f32_e32 v24, 0xbf5db3d7, v42
	;; [unrolled: 1-line block ×4, first 2 shown]
	v_add3_u32 v18, 0, v16, v17
	v_add_f32_e32 v17, v95, v97
	v_add_f32_e32 v16, v94, v96
	ds_write2_b64 v75, v[23:24], v[25:26] offset0:110 offset1:191
	v_sub_f32_e32 v23, v95, v97
	v_fma_f32 v16, -0.5, v16, v33
	v_fma_f32 v17, -0.5, v17, v34
	v_sub_f32_e32 v24, v94, v96
	ds_write_b64 v18, v[21:22]
	v_mov_b32_e32 v21, v16
	v_mov_b32_e32 v22, v17
	v_fmac_f32_e32 v16, 0xbf5db3d7, v23
	v_fmac_f32_e32 v17, 0x3f5db3d7, v24
	;; [unrolled: 1-line block ×4, first 2 shown]
	ds_write_b64 v18, v[16:17] offset:4320
	v_add_f32_e32 v16, v98, v100
	ds_write_b64 v18, v[21:22] offset:2160
	v_add_f32_e32 v25, v35, v98
	v_fma_f32 v35, -0.5, v16, v35
	v_add_f32_e32 v16, v99, v101
	v_add_f32_e32 v18, v102, v104
	v_add_f32_e32 v26, v36, v99
	v_fmac_f32_e32 v36, -0.5, v16
	v_fma_f32 v21, -0.5, v18, v37
	v_add_f32_e32 v18, v103, v48
	v_sub_f32_e32 v27, v99, v101
	v_mov_b32_e32 v16, v35
	v_sub_f32_e32 v28, v98, v100
	v_mov_b32_e32 v17, v36
	v_fma_f32 v22, -0.5, v18, v38
	v_sub_f32_e32 v29, v103, v48
	v_sub_f32_e32 v30, v102, v104
	v_fmac_f32_e32 v35, 0xbf5db3d7, v27
	v_fmac_f32_e32 v36, 0x3f5db3d7, v28
	v_mov_b32_e32 v23, v21
	v_fmac_f32_e32 v21, 0xbf5db3d7, v29
	v_mov_b32_e32 v24, v22
	v_fmac_f32_e32 v22, 0x3f5db3d7, v30
	v_lshl_add_u32 v31, v19, 3, 0
	v_add_f32_e32 v33, v37, v102
	v_add_f32_e32 v34, v38, v103
	v_fmac_f32_e32 v16, 0x3f5db3d7, v27
	v_fmac_f32_e32 v17, 0xbf5db3d7, v28
	ds_write_b64 v0, v[35:36] offset:17280
	ds_write_b64 v31, v[21:22] offset:17280
	v_add_f32_e32 v22, v39, v47
	v_add_f32_e32 v32, v40, v50
	v_lshl_add_u32 v37, v20, 3, 0
	v_add_f32_e32 v20, v25, v100
	v_add_f32_e32 v21, v26, v101
	ds_write_b64 v0, v[16:17] offset:15120
	v_add_f32_e32 v16, v33, v104
	v_add_f32_e32 v17, v34, v48
	;; [unrolled: 1-line block ×3, first 2 shown]
	ds_write_b64 v0, v[20:21] offset:12960
	ds_write_b64 v31, v[16:17] offset:12960
	v_add_f32_e32 v16, v22, v49
	v_add_f32_e32 v17, v32, v52
	v_lshlrev_b32_e32 v0, 1, v11
	v_fma_f32 v39, -0.5, v18, v39
	v_add_f32_e32 v18, v50, v52
	ds_write_b64 v37, v[16:17] offset:12960
	v_add_co_u32_e32 v4, vcc, s4, v4
	v_lshlrev_b64 v[16:17], 3, v[0:1]
	v_fmac_f32_e32 v40, -0.5, v18
	v_addc_co_u32_e32 v5, vcc, 0, v5, vcc
	v_sub_f32_e32 v35, v50, v52
	v_mov_b32_e32 v18, v39
	v_sub_f32_e32 v36, v47, v49
	v_mov_b32_e32 v19, v40
	v_add_co_u32_e32 v0, vcc, s8, v16
	v_fmac_f32_e32 v39, 0xbf5db3d7, v35
	v_fmac_f32_e32 v40, 0x3f5db3d7, v36
	;; [unrolled: 1-line block ×6, first 2 shown]
	v_addc_co_u32_e32 v11, vcc, v15, v17, vcc
	ds_write_b64 v37, v[39:40] offset:17280
	ds_write_b64 v31, v[23:24] offset:15120
	;; [unrolled: 1-line block ×3, first 2 shown]
	s_waitcnt lgkmcnt(0)
	s_barrier
	global_load_dwordx4 v[16:19], v[4:5], off offset:2304
	v_add_co_u32_e32 v4, vcc, s4, v0
	v_addc_co_u32_e32 v5, vcc, 0, v11, vcc
	v_lshlrev_b32_e32 v0, 1, v9
	global_load_dwordx4 v[20:23], v[4:5], off offset:2304
	v_lshlrev_b64 v[4:5], 3, v[0:1]
	v_add_co_u32_e32 v0, vcc, s8, v4
	v_addc_co_u32_e32 v5, vcc, v15, v5, vcc
	v_add_co_u32_e32 v4, vcc, s4, v0
	v_lshlrev_b32_e32 v0, 1, v10
	v_lshlrev_b64 v[9:10], 3, v[0:1]
	v_addc_co_u32_e32 v5, vcc, 0, v5, vcc
	v_add_co_u32_e32 v0, vcc, s8, v9
	v_addc_co_u32_e32 v10, vcc, v15, v10, vcc
	v_add_co_u32_e32 v9, vcc, s4, v0
	v_lshlrev_b32_e32 v0, 1, v8
	v_addc_co_u32_e32 v10, vcc, 0, v10, vcc
	global_load_dwordx4 v[24:27], v[4:5], off offset:2304
	global_load_dwordx4 v[28:31], v[9:10], off offset:2304
	v_lshlrev_b64 v[4:5], 3, v[0:1]
	ds_read2_b64 v[40:43], v68 offset0:76 offset1:157
	v_add_co_u32_e32 v0, vcc, s8, v4
	v_addc_co_u32_e32 v5, vcc, v15, v5, vcc
	v_add_co_u32_e32 v4, vcc, s4, v0
	v_lshlrev_b32_e32 v0, 1, v13
	v_lshlrev_b64 v[8:9], 3, v[0:1]
	v_addc_co_u32_e32 v5, vcc, 0, v5, vcc
	v_add_co_u32_e32 v0, vcc, s8, v8
	v_addc_co_u32_e32 v13, vcc, v15, v9, vcc
	global_load_dwordx4 v[8:11], v[4:5], off offset:2304
	v_add_co_u32_e32 v4, vcc, s4, v0
	v_addc_co_u32_e32 v5, vcc, 0, v13, vcc
	v_lshlrev_b32_e32 v0, 1, v12
	global_load_dwordx4 v[32:35], v[4:5], off offset:2304
	v_lshlrev_b64 v[4:5], 3, v[0:1]
	v_lshlrev_b32_e32 v0, 1, v14
	v_add_co_u32_e32 v12, vcc, s8, v4
	v_addc_co_u32_e32 v13, vcc, v15, v5, vcc
	v_lshlrev_b64 v[4:5], 3, v[0:1]
	v_add_co_u32_e32 v12, vcc, s4, v12
	v_addc_co_u32_e32 v13, vcc, 0, v13, vcc
	v_add_co_u32_e32 v0, vcc, s8, v4
	v_addc_co_u32_e32 v5, vcc, v15, v5, vcc
	global_load_dwordx4 v[36:39], v[12:13], off offset:2304
	v_add_co_u32_e32 v4, vcc, s4, v0
	v_addc_co_u32_e32 v5, vcc, 0, v5, vcc
	global_load_dwordx4 v[12:15], v[4:5], off offset:2304
	;; [unrolled: 3-line block ×4, first 2 shown]
	ds_read2_b64 v[44:47], v71 offset0:118 offset1:199
	s_waitcnt vmcnt(9) lgkmcnt(1)
	v_mul_f32_e32 v0, v41, v17
	v_fma_f32 v0, v40, v16, -v0
	v_mul_f32_e32 v40, v40, v17
	v_fmac_f32_e32 v40, v41, v16
	s_waitcnt lgkmcnt(0)
	v_mul_f32_e32 v6, v45, v19
	v_fma_f32 v41, v44, v18, -v6
	v_mul_f32_e32 v44, v44, v19
	s_waitcnt vmcnt(8)
	v_mul_f32_e32 v6, v43, v21
	v_fmac_f32_e32 v44, v45, v18
	v_fma_f32 v45, v42, v20, -v6
	v_mul_f32_e32 v42, v42, v21
	v_mul_f32_e32 v6, v47, v23
	v_fmac_f32_e32 v42, v43, v20
	ds_read2_b64 v[16:19], v75 offset0:110 offset1:191
	v_fma_f32 v43, v46, v22, -v6
	v_mul_f32_e32 v46, v46, v23
	v_fmac_f32_e32 v46, v47, v22
	ds_read2_b64 v[20:23], v67 offset0:152 offset1:233
	s_waitcnt vmcnt(7) lgkmcnt(1)
	v_mul_f32_e32 v6, v17, v25
	v_fma_f32 v47, v16, v24, -v6
	s_waitcnt lgkmcnt(0)
	v_mul_f32_e32 v6, v21, v27
	v_mul_f32_e32 v52, v16, v25
	v_fma_f32 v53, v20, v26, -v6
	s_waitcnt vmcnt(6)
	v_mul_f32_e32 v6, v19, v29
	v_mul_f32_e32 v29, v18, v29
	v_fmac_f32_e32 v52, v17, v24
	v_mul_f32_e32 v54, v20, v27
	v_fma_f32 v55, v18, v28, -v6
	v_fmac_f32_e32 v29, v19, v28
	v_mul_f32_e32 v6, v23, v31
	ds_read2_b64 v[16:19], v66 offset0:16 offset1:97
	v_mul_f32_e32 v31, v22, v31
	v_fmac_f32_e32 v54, v21, v26
	v_fma_f32 v28, v22, v30, -v6
	v_fmac_f32_e32 v31, v23, v30
	ds_read2_b64 v[20:23], v74 offset0:58 offset1:139
	s_waitcnt vmcnt(5) lgkmcnt(1)
	v_mul_f32_e32 v6, v17, v9
	v_fma_f32 v30, v16, v8, -v6
	v_mul_f32_e32 v56, v16, v9
	v_fmac_f32_e32 v56, v17, v8
	s_waitcnt lgkmcnt(0)
	v_mul_f32_e32 v6, v21, v11
	v_fma_f32 v57, v20, v10, -v6
	s_waitcnt vmcnt(4)
	v_mul_f32_e32 v6, v19, v33
	v_fma_f32 v59, v18, v32, -v6
	v_mul_f32_e32 v33, v18, v33
	ds_read2_b64 v[6:9], v61 offset0:50 offset1:131
	v_fmac_f32_e32 v33, v19, v32
	ds_read2_b64 v[16:19], v70 offset0:92 offset1:173
	v_mul_f32_e32 v58, v20, v11
	v_fmac_f32_e32 v58, v21, v10
	v_mul_f32_e32 v10, v23, v35
	v_fma_f32 v32, v22, v34, -v10
	v_mul_f32_e32 v35, v22, v35
	v_fmac_f32_e32 v35, v23, v34
	s_waitcnt vmcnt(3) lgkmcnt(1)
	v_mul_f32_e32 v10, v7, v37
	v_fma_f32 v34, v6, v36, -v10
	v_mul_f32_e32 v37, v6, v37
	s_waitcnt lgkmcnt(0)
	v_mul_f32_e32 v6, v17, v39
	v_fmac_f32_e32 v37, v7, v36
	v_fma_f32 v36, v16, v38, -v6
	v_mul_f32_e32 v39, v16, v39
	s_waitcnt vmcnt(2)
	v_mul_f32_e32 v6, v9, v13
	v_fmac_f32_e32 v39, v17, v38
	v_fma_f32 v38, v8, v12, -v6
	v_mul_f32_e32 v77, v8, v13
	v_mul_f32_e32 v6, v19, v15
	ds_read_b64 v[10:11], v64 offset:6480
	v_fmac_f32_e32 v77, v9, v12
	v_fma_f32 v78, v18, v14, -v6
	ds_read2_b64 v[6:9], v76 offset0:84 offset1:165
	v_mul_f32_e32 v79, v18, v15
	s_waitcnt vmcnt(1) lgkmcnt(1)
	v_mul_f32_e32 v12, v3, v11
	v_mul_f32_e32 v81, v3, v10
	v_fma_f32 v80, v2, v10, -v12
	v_fmac_f32_e32 v81, v2, v11
	s_waitcnt lgkmcnt(0)
	v_mul_f32_e32 v2, v5, v7
	v_mul_f32_e32 v83, v5, v6
	v_fma_f32 v82, v4, v6, -v2
	v_fmac_f32_e32 v83, v4, v7
	ds_read2_b32 v[6:7], v69 offset0:246 offset1:247
	s_waitcnt vmcnt(0)
	v_mul_f32_e32 v2, v9, v51
	v_fma_f32 v84, v8, v50, -v2
	ds_read2_b64 v[2:5], v64 offset1:81
	v_mul_f32_e32 v51, v8, v51
	s_waitcnt lgkmcnt(1)
	v_mul_f32_e32 v8, v7, v49
	v_fma_f32 v8, v48, v6, -v8
	v_mul_f32_e32 v6, v49, v6
	v_fmac_f32_e32 v6, v7, v48
	v_add_f32_e32 v7, v80, v82
	s_waitcnt lgkmcnt(0)
	v_fma_f32 v22, -0.5, v7, v2
	v_add_f32_e32 v7, v81, v83
	v_fmac_f32_e32 v51, v9, v50
	v_fma_f32 v23, -0.5, v7, v3
	v_add_f32_e32 v7, v8, v84
	v_add_f32_e32 v48, v4, v8
	v_fma_f32 v4, -0.5, v7, v4
	v_add_f32_e32 v7, v6, v51
	v_add_f32_e32 v49, v5, v6
	v_fmac_f32_e32 v5, -0.5, v7
	v_sub_f32_e32 v50, v81, v83
	v_sub_f32_e32 v85, v80, v82
	;; [unrolled: 1-line block ×4, first 2 shown]
	v_fmac_f32_e32 v79, v19, v14
	v_mov_b32_e32 v24, v22
	v_mov_b32_e32 v25, v23
	;; [unrolled: 1-line block ×4, first 2 shown]
	ds_read2_b64 v[6:9], v64 offset0:162 offset1:243
	ds_read2_b64 v[10:13], v72 offset0:68 offset1:149
	;; [unrolled: 1-line block ×4, first 2 shown]
	v_fmac_f32_e32 v22, 0xbf5db3d7, v50
	v_fmac_f32_e32 v23, 0x3f5db3d7, v85
	;; [unrolled: 1-line block ×8, first 2 shown]
	s_waitcnt lgkmcnt(0)
	s_barrier
	ds_write2_b64 v76, v[22:23], v[4:5] offset0:84 offset1:165
	v_add_f32_e32 v4, v45, v43
	ds_write2_b64 v69, v[24:25], v[26:27] offset0:42 offset1:123
	v_add_f32_e32 v24, v2, v80
	v_add_f32_e32 v25, v3, v81
	;; [unrolled: 1-line block ×5, first 2 shown]
	v_fma_f32 v8, -0.5, v4, v8
	v_add_f32_e32 v4, v42, v46
	v_fma_f32 v2, -0.5, v2, v6
	v_fma_f32 v3, -0.5, v3, v7
	v_add_f32_e32 v27, v9, v42
	v_fmac_f32_e32 v9, -0.5, v4
	v_sub_f32_e32 v50, v40, v44
	v_sub_f32_e32 v69, v0, v41
	;; [unrolled: 1-line block ×4, first 2 shown]
	v_mov_b32_e32 v4, v2
	v_fmac_f32_e32 v2, 0xbf5db3d7, v50
	v_mov_b32_e32 v5, v3
	v_fmac_f32_e32 v3, 0x3f5db3d7, v69
	;; [unrolled: 2-line block ×4, first 2 shown]
	ds_write2_b64 v71, v[2:3], v[8:9] offset0:118 offset1:199
	v_add_f32_e32 v0, v6, v0
	v_add_f32_e32 v8, v7, v40
	;; [unrolled: 1-line block ×6, first 2 shown]
	ds_write2_b64 v64, v[2:3], v[6:7] offset1:81
	v_add_f32_e32 v2, v0, v41
	v_add_f32_e32 v3, v8, v44
	;; [unrolled: 1-line block ×4, first 2 shown]
	v_fmac_f32_e32 v4, 0x3f5db3d7, v50
	v_fmac_f32_e32 v5, 0xbf5db3d7, v69
	;; [unrolled: 1-line block ×4, first 2 shown]
	v_add_f32_e32 v0, v47, v53
	ds_write2_b64 v64, v[2:3], v[6:7] offset0:162 offset1:243
	ds_write2_b64 v68, v[4:5], v[22:23] offset0:76 offset1:157
	v_fma_f32 v2, -0.5, v0, v10
	v_add_f32_e32 v0, v52, v54
	v_add_f32_e32 v4, v55, v28
	v_fma_f32 v3, -0.5, v0, v11
	v_add_f32_e32 v0, v12, v55
	v_fma_f32 v12, -0.5, v4, v12
	v_add_f32_e32 v4, v29, v31
	v_add_f32_e32 v9, v13, v29
	v_fmac_f32_e32 v13, -0.5, v4
	v_sub_f32_e32 v22, v52, v54
	v_sub_f32_e32 v23, v47, v53
	;; [unrolled: 1-line block ×4, first 2 shown]
	v_mov_b32_e32 v4, v2
	v_fmac_f32_e32 v2, 0xbf5db3d7, v22
	v_mov_b32_e32 v5, v3
	v_fmac_f32_e32 v3, 0x3f5db3d7, v23
	;; [unrolled: 2-line block ×4, first 2 shown]
	ds_write2_b64 v67, v[2:3], v[12:13] offset0:152 offset1:233
	v_add_f32_e32 v2, v10, v47
	v_add_f32_e32 v3, v11, v52
	;; [unrolled: 1-line block ×7, first 2 shown]
	ds_write2_b64 v72, v[2:3], v[8:9] offset0:68 offset1:149
	v_add_f32_e32 v2, v0, v57
	v_add_f32_e32 v0, v15, v56
	v_fmac_f32_e32 v4, 0x3f5db3d7, v22
	v_fmac_f32_e32 v5, 0xbf5db3d7, v23
	;; [unrolled: 1-line block ×4, first 2 shown]
	v_add_f32_e32 v3, v0, v58
	v_add_f32_e32 v0, v16, v59
	ds_write2_b64 v75, v[4:5], v[6:7] offset0:110 offset1:191
	v_add_f32_e32 v4, v0, v32
	v_add_f32_e32 v0, v17, v33
	;; [unrolled: 1-line block ×3, first 2 shown]
	ds_write2_b64 v65, v[2:3], v[4:5] offset0:102 offset1:183
	v_add_f32_e32 v4, v59, v32
	v_add_f32_e32 v3, v56, v58
	;; [unrolled: 1-line block ×3, first 2 shown]
	v_fma_f32 v16, -0.5, v4, v16
	v_add_f32_e32 v4, v33, v35
	v_fma_f32 v2, -0.5, v2, v14
	v_fma_f32 v3, -0.5, v3, v15
	v_fmac_f32_e32 v17, -0.5, v4
	v_sub_f32_e32 v0, v56, v58
	v_sub_f32_e32 v8, v30, v57
	;; [unrolled: 1-line block ×4, first 2 shown]
	v_mov_b32_e32 v4, v2
	v_mov_b32_e32 v5, v3
	;; [unrolled: 1-line block ×4, first 2 shown]
	v_fmac_f32_e32 v4, 0x3f5db3d7, v0
	v_fmac_f32_e32 v5, 0xbf5db3d7, v8
	;; [unrolled: 1-line block ×5, first 2 shown]
	v_add_f32_e32 v0, v34, v36
	ds_write2_b64 v66, v[4:5], v[6:7] offset0:16 offset1:97
	v_fma_f32 v4, -0.5, v0, v18
	v_sub_f32_e32 v0, v37, v39
	v_mov_b32_e32 v6, v4
	v_fmac_f32_e32 v6, 0x3f5db3d7, v0
	v_fmac_f32_e32 v4, 0xbf5db3d7, v0
	v_add_f32_e32 v0, v18, v34
	v_fmac_f32_e32 v3, 0x3f5db3d7, v8
	v_add_f32_e32 v8, v0, v36
	v_add_f32_e32 v0, v19, v37
	v_fmac_f32_e32 v16, 0xbf5db3d7, v9
	v_add_f32_e32 v9, v0, v39
	v_add_f32_e32 v0, v37, v39
	v_fma_f32 v5, -0.5, v0, v19
	v_sub_f32_e32 v0, v34, v36
	v_mov_b32_e32 v7, v5
	v_fmac_f32_e32 v7, 0xbf5db3d7, v0
	v_fmac_f32_e32 v5, 0x3f5db3d7, v0
	v_add_f32_e32 v0, v20, v38
	v_fmac_f32_e32 v17, 0x3f5db3d7, v10
	v_add_f32_e32 v10, v38, v78
	v_add_f32_e32 v12, v0, v78
	;; [unrolled: 1-line block ×3, first 2 shown]
	v_fma_f32 v20, -0.5, v10, v20
	v_add_f32_e32 v13, v0, v79
	v_add_f32_e32 v0, v77, v79
	v_sub_f32_e32 v11, v77, v79
	v_mov_b32_e32 v10, v20
	v_fmac_f32_e32 v21, -0.5, v0
	v_fmac_f32_e32 v10, 0x3f5db3d7, v11
	v_fmac_f32_e32 v20, 0xbf5db3d7, v11
	v_sub_f32_e32 v0, v38, v78
	v_mov_b32_e32 v11, v21
	v_fmac_f32_e32 v11, 0xbf5db3d7, v0
	v_fmac_f32_e32 v21, 0x3f5db3d7, v0
	ds_write2_b64 v74, v[2:3], v[16:17] offset0:58 offset1:139
	ds_write2_b64 v73, v[8:9], v[12:13] offset0:136 offset1:217
	;; [unrolled: 1-line block ×4, first 2 shown]
	s_waitcnt lgkmcnt(0)
	s_barrier
	s_and_saveexec_b64 s[4:5], s[0:1]
	s_cbranch_execz .LBB0_19
; %bb.18:
	v_lshl_add_u32 v8, v60, 3, 0
	v_mov_b32_e32 v61, v1
	ds_read2_b64 v[2:5], v8 offset1:81
	v_mov_b32_e32 v0, s3
	v_add_co_u32_e32 v9, vcc, s2, v62
	v_lshlrev_b64 v[6:7], 3, v[60:61]
	v_addc_co_u32_e32 v10, vcc, v0, v63, vcc
	v_add_co_u32_e32 v6, vcc, v9, v6
	v_addc_co_u32_e32 v7, vcc, v10, v7, vcc
	v_add_u32_e32 v0, 0x51, v60
	s_waitcnt lgkmcnt(0)
	global_store_dwordx2 v[6:7], v[2:3], off
	v_lshlrev_b64 v[2:3], 3, v[0:1]
	v_add_u32_e32 v0, 0xa2, v60
	v_add_co_u32_e32 v2, vcc, v9, v2
	v_addc_co_u32_e32 v3, vcc, v10, v3, vcc
	global_store_dwordx2 v[2:3], v[4:5], off
	ds_read2_b64 v[2:5], v8 offset0:162 offset1:243
	v_lshlrev_b64 v[6:7], 3, v[0:1]
	v_add_u32_e32 v0, 0xf3, v60
	v_add_co_u32_e32 v6, vcc, v9, v6
	v_addc_co_u32_e32 v7, vcc, v10, v7, vcc
	s_waitcnt lgkmcnt(0)
	global_store_dwordx2 v[6:7], v[2:3], off
	v_lshlrev_b64 v[2:3], 3, v[0:1]
	v_add_u32_e32 v0, 0x144, v60
	v_add_co_u32_e32 v2, vcc, v9, v2
	v_addc_co_u32_e32 v3, vcc, v10, v3, vcc
	global_store_dwordx2 v[2:3], v[4:5], off
	v_add_u32_e32 v2, 0x800, v8
	ds_read2_b64 v[2:5], v2 offset0:68 offset1:149
	v_lshlrev_b64 v[6:7], 3, v[0:1]
	v_add_u32_e32 v0, 0x195, v60
	v_add_co_u32_e32 v6, vcc, v9, v6
	v_addc_co_u32_e32 v7, vcc, v10, v7, vcc
	s_waitcnt lgkmcnt(0)
	global_store_dwordx2 v[6:7], v[2:3], off
	v_lshlrev_b64 v[2:3], 3, v[0:1]
	v_add_u32_e32 v0, 0x1e6, v60
	v_add_co_u32_e32 v2, vcc, v9, v2
	v_addc_co_u32_e32 v3, vcc, v10, v3, vcc
	global_store_dwordx2 v[2:3], v[4:5], off
	v_add_u32_e32 v2, 0xc00, v8
	;; [unrolled: 13-line block ×13, first 2 shown]
	v_lshlrev_b64 v[6:7], 3, v[0:1]
	ds_read2_b64 v[2:5], v2 offset0:92 offset1:173
	v_add_u32_e32 v0, 0x92d, v60
	v_add_co_u32_e32 v6, vcc, v9, v6
	v_lshlrev_b64 v[0:1], 3, v[0:1]
	v_addc_co_u32_e32 v7, vcc, v10, v7, vcc
	v_add_co_u32_e32 v0, vcc, v9, v0
	v_addc_co_u32_e32 v1, vcc, v10, v1, vcc
	s_waitcnt lgkmcnt(0)
	global_store_dwordx2 v[6:7], v[2:3], off
	global_store_dwordx2 v[0:1], v[4:5], off
.LBB0_19:
	s_endpgm
	.section	.rodata,"a",@progbits
	.p2align	6, 0x0
	.amdhsa_kernel fft_rtc_fwd_len2430_factors_10_3_3_3_3_3_wgs_81_tpt_81_halfLds_sp_ip_CI_unitstride_sbrr_C2R_dirReg
		.amdhsa_group_segment_fixed_size 0
		.amdhsa_private_segment_fixed_size 0
		.amdhsa_kernarg_size 88
		.amdhsa_user_sgpr_count 6
		.amdhsa_user_sgpr_private_segment_buffer 1
		.amdhsa_user_sgpr_dispatch_ptr 0
		.amdhsa_user_sgpr_queue_ptr 0
		.amdhsa_user_sgpr_kernarg_segment_ptr 1
		.amdhsa_user_sgpr_dispatch_id 0
		.amdhsa_user_sgpr_flat_scratch_init 0
		.amdhsa_user_sgpr_private_segment_size 0
		.amdhsa_uses_dynamic_stack 0
		.amdhsa_system_sgpr_private_segment_wavefront_offset 0
		.amdhsa_system_sgpr_workgroup_id_x 1
		.amdhsa_system_sgpr_workgroup_id_y 0
		.amdhsa_system_sgpr_workgroup_id_z 0
		.amdhsa_system_sgpr_workgroup_info 0
		.amdhsa_system_vgpr_workitem_id 0
		.amdhsa_next_free_vgpr 113
		.amdhsa_next_free_sgpr 22
		.amdhsa_reserve_vcc 1
		.amdhsa_reserve_flat_scratch 0
		.amdhsa_float_round_mode_32 0
		.amdhsa_float_round_mode_16_64 0
		.amdhsa_float_denorm_mode_32 3
		.amdhsa_float_denorm_mode_16_64 3
		.amdhsa_dx10_clamp 1
		.amdhsa_ieee_mode 1
		.amdhsa_fp16_overflow 0
		.amdhsa_exception_fp_ieee_invalid_op 0
		.amdhsa_exception_fp_denorm_src 0
		.amdhsa_exception_fp_ieee_div_zero 0
		.amdhsa_exception_fp_ieee_overflow 0
		.amdhsa_exception_fp_ieee_underflow 0
		.amdhsa_exception_fp_ieee_inexact 0
		.amdhsa_exception_int_div_zero 0
	.end_amdhsa_kernel
	.text
.Lfunc_end0:
	.size	fft_rtc_fwd_len2430_factors_10_3_3_3_3_3_wgs_81_tpt_81_halfLds_sp_ip_CI_unitstride_sbrr_C2R_dirReg, .Lfunc_end0-fft_rtc_fwd_len2430_factors_10_3_3_3_3_3_wgs_81_tpt_81_halfLds_sp_ip_CI_unitstride_sbrr_C2R_dirReg
                                        ; -- End function
	.section	.AMDGPU.csdata,"",@progbits
; Kernel info:
; codeLenInByte = 18868
; NumSgprs: 26
; NumVgprs: 113
; ScratchSize: 0
; MemoryBound: 0
; FloatMode: 240
; IeeeMode: 1
; LDSByteSize: 0 bytes/workgroup (compile time only)
; SGPRBlocks: 3
; VGPRBlocks: 28
; NumSGPRsForWavesPerEU: 26
; NumVGPRsForWavesPerEU: 113
; Occupancy: 2
; WaveLimiterHint : 1
; COMPUTE_PGM_RSRC2:SCRATCH_EN: 0
; COMPUTE_PGM_RSRC2:USER_SGPR: 6
; COMPUTE_PGM_RSRC2:TRAP_HANDLER: 0
; COMPUTE_PGM_RSRC2:TGID_X_EN: 1
; COMPUTE_PGM_RSRC2:TGID_Y_EN: 0
; COMPUTE_PGM_RSRC2:TGID_Z_EN: 0
; COMPUTE_PGM_RSRC2:TIDIG_COMP_CNT: 0
	.type	__hip_cuid_fd5abd2b9a87eb52,@object ; @__hip_cuid_fd5abd2b9a87eb52
	.section	.bss,"aw",@nobits
	.globl	__hip_cuid_fd5abd2b9a87eb52
__hip_cuid_fd5abd2b9a87eb52:
	.byte	0                               ; 0x0
	.size	__hip_cuid_fd5abd2b9a87eb52, 1

	.ident	"AMD clang version 19.0.0git (https://github.com/RadeonOpenCompute/llvm-project roc-6.4.0 25133 c7fe45cf4b819c5991fe208aaa96edf142730f1d)"
	.section	".note.GNU-stack","",@progbits
	.addrsig
	.addrsig_sym __hip_cuid_fd5abd2b9a87eb52
	.amdgpu_metadata
---
amdhsa.kernels:
  - .args:
      - .actual_access:  read_only
        .address_space:  global
        .offset:         0
        .size:           8
        .value_kind:     global_buffer
      - .offset:         8
        .size:           8
        .value_kind:     by_value
      - .actual_access:  read_only
        .address_space:  global
        .offset:         16
        .size:           8
        .value_kind:     global_buffer
      - .actual_access:  read_only
        .address_space:  global
        .offset:         24
        .size:           8
        .value_kind:     global_buffer
      - .offset:         32
        .size:           8
        .value_kind:     by_value
      - .actual_access:  read_only
        .address_space:  global
        .offset:         40
        .size:           8
        .value_kind:     global_buffer
      - .actual_access:  read_only
        .address_space:  global
        .offset:         48
        .size:           8
        .value_kind:     global_buffer
      - .offset:         56
        .size:           4
        .value_kind:     by_value
      - .actual_access:  read_only
        .address_space:  global
        .offset:         64
        .size:           8
        .value_kind:     global_buffer
      - .actual_access:  read_only
        .address_space:  global
        .offset:         72
        .size:           8
        .value_kind:     global_buffer
      - .address_space:  global
        .offset:         80
        .size:           8
        .value_kind:     global_buffer
    .group_segment_fixed_size: 0
    .kernarg_segment_align: 8
    .kernarg_segment_size: 88
    .language:       OpenCL C
    .language_version:
      - 2
      - 0
    .max_flat_workgroup_size: 81
    .name:           fft_rtc_fwd_len2430_factors_10_3_3_3_3_3_wgs_81_tpt_81_halfLds_sp_ip_CI_unitstride_sbrr_C2R_dirReg
    .private_segment_fixed_size: 0
    .sgpr_count:     26
    .sgpr_spill_count: 0
    .symbol:         fft_rtc_fwd_len2430_factors_10_3_3_3_3_3_wgs_81_tpt_81_halfLds_sp_ip_CI_unitstride_sbrr_C2R_dirReg.kd
    .uniform_work_group_size: 1
    .uses_dynamic_stack: false
    .vgpr_count:     113
    .vgpr_spill_count: 0
    .wavefront_size: 64
amdhsa.target:   amdgcn-amd-amdhsa--gfx906
amdhsa.version:
  - 1
  - 2
...

	.end_amdgpu_metadata
